;; amdgpu-corpus repo=ROCm/rocFFT kind=compiled arch=gfx950 opt=O3
	.text
	.amdgcn_target "amdgcn-amd-amdhsa--gfx950"
	.amdhsa_code_object_version 6
	.protected	fft_rtc_fwd_len442_factors_17_2_13_wgs_238_tpt_34_halfLds_sp_ip_CI_sbrr_dirReg ; -- Begin function fft_rtc_fwd_len442_factors_17_2_13_wgs_238_tpt_34_halfLds_sp_ip_CI_sbrr_dirReg
	.globl	fft_rtc_fwd_len442_factors_17_2_13_wgs_238_tpt_34_halfLds_sp_ip_CI_sbrr_dirReg
	.p2align	8
	.type	fft_rtc_fwd_len442_factors_17_2_13_wgs_238_tpt_34_halfLds_sp_ip_CI_sbrr_dirReg,@function
fft_rtc_fwd_len442_factors_17_2_13_wgs_238_tpt_34_halfLds_sp_ip_CI_sbrr_dirReg: ; @fft_rtc_fwd_len442_factors_17_2_13_wgs_238_tpt_34_halfLds_sp_ip_CI_sbrr_dirReg
; %bb.0:
	s_load_dwordx2 s[12:13], s[0:1], 0x18
	s_load_dwordx4 s[4:7], s[0:1], 0x0
	s_load_dwordx2 s[10:11], s[0:1], 0x50
	v_mul_u32_u24_e32 v1, 0x788, v0
	v_lshrrev_b32_e32 v2, 16, v1
	s_waitcnt lgkmcnt(0)
	s_load_dwordx2 s[8:9], s[12:13], 0x0
	v_mad_u64_u32 v[24:25], s[2:3], s2, 7, v[2:3]
	v_mov_b32_e32 v4, 0
	v_mov_b32_e32 v25, v4
	v_cmp_lt_u64_e64 s[2:3], s[6:7], 2
	s_and_b64 vcc, exec, s[2:3]
	v_mov_b64_e32 v[2:3], 0
	v_mov_b64_e32 v[8:9], v[24:25]
	s_cbranch_vccnz .LBB0_8
; %bb.1:
	s_load_dwordx2 s[2:3], s[0:1], 0x10
	s_add_u32 s14, s12, 8
	s_addc_u32 s15, s13, 0
	s_mov_b64 s[16:17], 1
	v_mov_b64_e32 v[2:3], 0
	s_waitcnt lgkmcnt(0)
	s_add_u32 s18, s2, 8
	s_addc_u32 s19, s3, 0
	v_mov_b64_e32 v[6:7], v[24:25]
.LBB0_2:                                ; =>This Inner Loop Header: Depth=1
	s_load_dwordx2 s[20:21], s[18:19], 0x0
                                        ; implicit-def: $vgpr8_vgpr9
	s_waitcnt lgkmcnt(0)
	v_or_b32_e32 v5, s21, v7
	v_cmp_ne_u64_e32 vcc, 0, v[4:5]
	s_and_saveexec_b64 s[2:3], vcc
	s_xor_b64 s[22:23], exec, s[2:3]
	s_cbranch_execz .LBB0_4
; %bb.3:                                ;   in Loop: Header=BB0_2 Depth=1
	v_cvt_f32_u32_e32 v1, s20
	v_cvt_f32_u32_e32 v5, s21
	s_sub_u32 s2, 0, s20
	s_subb_u32 s3, 0, s21
	v_fmac_f32_e32 v1, 0x4f800000, v5
	v_rcp_f32_e32 v1, v1
	s_nop 0
	v_mul_f32_e32 v1, 0x5f7ffffc, v1
	v_mul_f32_e32 v5, 0x2f800000, v1
	v_trunc_f32_e32 v5, v5
	v_fmac_f32_e32 v1, 0xcf800000, v5
	v_cvt_u32_f32_e32 v5, v5
	v_cvt_u32_f32_e32 v1, v1
	v_mul_lo_u32 v8, s2, v5
	v_mul_hi_u32 v10, s2, v1
	v_mul_lo_u32 v9, s3, v1
	v_add_u32_e32 v10, v10, v8
	v_mul_lo_u32 v12, s2, v1
	v_add_u32_e32 v13, v10, v9
	v_mul_hi_u32 v8, v1, v12
	v_mul_hi_u32 v11, v1, v13
	v_mul_lo_u32 v10, v1, v13
	v_mov_b32_e32 v9, v4
	v_lshl_add_u64 v[8:9], v[8:9], 0, v[10:11]
	v_mul_hi_u32 v11, v5, v12
	v_mul_lo_u32 v12, v5, v12
	v_add_co_u32_e32 v8, vcc, v8, v12
	v_mul_hi_u32 v10, v5, v13
	s_nop 0
	v_addc_co_u32_e32 v8, vcc, v9, v11, vcc
	v_mov_b32_e32 v9, v4
	s_nop 0
	v_addc_co_u32_e32 v11, vcc, 0, v10, vcc
	v_mul_lo_u32 v10, v5, v13
	v_lshl_add_u64 v[8:9], v[8:9], 0, v[10:11]
	v_add_co_u32_e32 v1, vcc, v1, v8
	v_mul_lo_u32 v10, s2, v1
	s_nop 0
	v_addc_co_u32_e32 v5, vcc, v5, v9, vcc
	v_mul_lo_u32 v8, s2, v5
	v_mul_hi_u32 v9, s2, v1
	v_add_u32_e32 v8, v9, v8
	v_mul_lo_u32 v9, s3, v1
	v_add_u32_e32 v12, v8, v9
	v_mul_hi_u32 v14, v5, v10
	v_mul_lo_u32 v15, v5, v10
	v_mul_hi_u32 v9, v1, v12
	v_mul_lo_u32 v8, v1, v12
	v_mul_hi_u32 v10, v1, v10
	v_mov_b32_e32 v11, v4
	v_lshl_add_u64 v[8:9], v[10:11], 0, v[8:9]
	v_add_co_u32_e32 v8, vcc, v8, v15
	v_mul_hi_u32 v13, v5, v12
	s_nop 0
	v_addc_co_u32_e32 v8, vcc, v9, v14, vcc
	v_mul_lo_u32 v10, v5, v12
	s_nop 0
	v_addc_co_u32_e32 v11, vcc, 0, v13, vcc
	v_mov_b32_e32 v9, v4
	v_lshl_add_u64 v[8:9], v[8:9], 0, v[10:11]
	v_add_co_u32_e32 v1, vcc, v1, v8
	v_mul_hi_u32 v10, v6, v1
	s_nop 0
	v_addc_co_u32_e32 v5, vcc, v5, v9, vcc
	v_mad_u64_u32 v[8:9], s[2:3], v6, v5, 0
	v_mov_b32_e32 v11, v4
	v_lshl_add_u64 v[8:9], v[10:11], 0, v[8:9]
	v_mad_u64_u32 v[12:13], s[2:3], v7, v1, 0
	v_add_co_u32_e32 v1, vcc, v8, v12
	v_mad_u64_u32 v[10:11], s[2:3], v7, v5, 0
	s_nop 0
	v_addc_co_u32_e32 v8, vcc, v9, v13, vcc
	v_mov_b32_e32 v9, v4
	s_nop 0
	v_addc_co_u32_e32 v11, vcc, 0, v11, vcc
	v_lshl_add_u64 v[8:9], v[8:9], 0, v[10:11]
	v_mul_lo_u32 v1, s21, v8
	v_mul_lo_u32 v5, s20, v9
	v_mad_u64_u32 v[10:11], s[2:3], s20, v8, 0
	v_add3_u32 v1, v11, v5, v1
	v_sub_u32_e32 v5, v7, v1
	v_mov_b32_e32 v11, s21
	v_sub_co_u32_e32 v14, vcc, v6, v10
	v_lshl_add_u64 v[12:13], v[8:9], 0, 1
	s_nop 0
	v_subb_co_u32_e64 v5, s[2:3], v5, v11, vcc
	v_subrev_co_u32_e64 v10, s[2:3], s20, v14
	v_subb_co_u32_e32 v1, vcc, v7, v1, vcc
	s_nop 0
	v_subbrev_co_u32_e64 v5, s[2:3], 0, v5, s[2:3]
	v_cmp_le_u32_e64 s[2:3], s21, v5
	v_cmp_le_u32_e32 vcc, s21, v1
	s_nop 0
	v_cndmask_b32_e64 v11, 0, -1, s[2:3]
	v_cmp_le_u32_e64 s[2:3], s20, v10
	s_nop 1
	v_cndmask_b32_e64 v10, 0, -1, s[2:3]
	v_cmp_eq_u32_e64 s[2:3], s21, v5
	s_nop 1
	v_cndmask_b32_e64 v5, v11, v10, s[2:3]
	v_lshl_add_u64 v[10:11], v[8:9], 0, 2
	v_cmp_ne_u32_e64 s[2:3], 0, v5
	s_nop 1
	v_cndmask_b32_e64 v5, v13, v11, s[2:3]
	v_cndmask_b32_e64 v11, 0, -1, vcc
	v_cmp_le_u32_e32 vcc, s20, v14
	s_nop 1
	v_cndmask_b32_e64 v13, 0, -1, vcc
	v_cmp_eq_u32_e32 vcc, s21, v1
	s_nop 1
	v_cndmask_b32_e32 v1, v11, v13, vcc
	v_cmp_ne_u32_e32 vcc, 0, v1
	v_cndmask_b32_e64 v1, v12, v10, s[2:3]
	s_nop 0
	v_cndmask_b32_e32 v9, v9, v5, vcc
	v_cndmask_b32_e32 v8, v8, v1, vcc
.LBB0_4:                                ;   in Loop: Header=BB0_2 Depth=1
	s_andn2_saveexec_b64 s[2:3], s[22:23]
	s_cbranch_execz .LBB0_6
; %bb.5:                                ;   in Loop: Header=BB0_2 Depth=1
	v_cvt_f32_u32_e32 v1, s20
	s_sub_i32 s22, 0, s20
	v_rcp_iflag_f32_e32 v1, v1
	s_nop 0
	v_mul_f32_e32 v1, 0x4f7ffffe, v1
	v_cvt_u32_f32_e32 v1, v1
	v_mul_lo_u32 v5, s22, v1
	v_mul_hi_u32 v5, v1, v5
	v_add_u32_e32 v1, v1, v5
	v_mul_hi_u32 v1, v6, v1
	v_mul_lo_u32 v5, v1, s20
	v_sub_u32_e32 v5, v6, v5
	v_add_u32_e32 v8, 1, v1
	v_subrev_u32_e32 v9, s20, v5
	v_cmp_le_u32_e32 vcc, s20, v5
	s_nop 1
	v_cndmask_b32_e32 v5, v5, v9, vcc
	v_cndmask_b32_e32 v1, v1, v8, vcc
	v_add_u32_e32 v8, 1, v1
	v_cmp_le_u32_e32 vcc, s20, v5
	v_mov_b32_e32 v9, v4
	s_nop 0
	v_cndmask_b32_e32 v8, v1, v8, vcc
.LBB0_6:                                ;   in Loop: Header=BB0_2 Depth=1
	s_or_b64 exec, exec, s[2:3]
	v_mad_u64_u32 v[10:11], s[2:3], v8, s20, 0
	s_load_dwordx2 s[2:3], s[14:15], 0x0
	v_mul_lo_u32 v1, v9, s20
	v_mul_lo_u32 v5, v8, s21
	v_add3_u32 v1, v11, v5, v1
	v_sub_co_u32_e32 v5, vcc, v6, v10
	s_add_u32 s16, s16, 1
	s_nop 0
	v_subb_co_u32_e32 v1, vcc, v7, v1, vcc
	s_addc_u32 s17, s17, 0
	s_waitcnt lgkmcnt(0)
	v_mul_lo_u32 v1, s2, v1
	v_mul_lo_u32 v6, s3, v5
	v_mad_u64_u32 v[2:3], s[2:3], s2, v5, v[2:3]
	s_add_u32 s14, s14, 8
	v_add3_u32 v3, v6, v3, v1
	s_addc_u32 s15, s15, 0
	v_mov_b64_e32 v[6:7], s[6:7]
	s_add_u32 s18, s18, 8
	v_cmp_ge_u64_e32 vcc, s[16:17], v[6:7]
	s_addc_u32 s19, s19, 0
	s_cbranch_vccnz .LBB0_8
; %bb.7:                                ;   in Loop: Header=BB0_2 Depth=1
	v_mov_b64_e32 v[6:7], v[8:9]
	s_branch .LBB0_2
.LBB0_8:
	s_lshl_b64 s[2:3], s[6:7], 3
	s_add_u32 s2, s12, s2
	s_addc_u32 s3, s13, s3
	s_load_dwordx2 s[6:7], s[2:3], 0x0
	s_load_dwordx2 s[12:13], s[0:1], 0x20
	v_mov_b32_e32 v23, 0
	v_mov_b32_e32 v103, 0
	;; [unrolled: 1-line block ×3, first 2 shown]
	s_waitcnt lgkmcnt(0)
	v_mad_u64_u32 v[2:3], s[0:1], s6, v8, v[2:3]
	v_mul_lo_u32 v1, s6, v9
	v_mul_lo_u32 v4, s7, v8
	s_mov_b32 s0, 0x7878788
	v_add3_u32 v3, v4, v3, v1
	v_mul_hi_u32 v1, v0, s0
	v_mul_u32_u24_e32 v1, 34, v1
	v_cmp_gt_u64_e32 vcc, s[12:13], v[8:9]
	v_sub_u32_e32 v102, v0, v1
                                        ; implicit-def: $vgpr52
                                        ; implicit-def: $vgpr10
                                        ; implicit-def: $vgpr20
                                        ; implicit-def: $vgpr8
                                        ; implicit-def: $vgpr36
                                        ; implicit-def: $vgpr4
                                        ; implicit-def: $vgpr38
                                        ; implicit-def: $vgpr18
                                        ; implicit-def: $vgpr40
                                        ; implicit-def: $vgpr16
                                        ; implicit-def: $vgpr46
                                        ; implicit-def: $vgpr14
                                        ; implicit-def: $vgpr44
                                        ; implicit-def: $vgpr12
                                        ; implicit-def: $vgpr42
                                        ; implicit-def: $vgpr6
	s_and_saveexec_b64 s[2:3], vcc
	s_cbranch_execz .LBB0_12
; %bb.9:
	v_cmp_gt_u32_e64 s[0:1], 26, v102
	v_mov_b32_e32 v26, 0
	v_mov_b32_e32 v23, 0
                                        ; implicit-def: $vgpr7
                                        ; implicit-def: $vgpr43
                                        ; implicit-def: $vgpr13
                                        ; implicit-def: $vgpr45
                                        ; implicit-def: $vgpr15
                                        ; implicit-def: $vgpr47
                                        ; implicit-def: $vgpr17
                                        ; implicit-def: $vgpr41
                                        ; implicit-def: $vgpr19
                                        ; implicit-def: $vgpr39
                                        ; implicit-def: $vgpr5
                                        ; implicit-def: $vgpr37
                                        ; implicit-def: $vgpr9
                                        ; implicit-def: $vgpr21
                                        ; implicit-def: $vgpr11
                                        ; implicit-def: $vgpr52
	s_and_saveexec_b64 s[6:7], s[0:1]
	s_cbranch_execz .LBB0_11
; %bb.10:
	v_mad_u64_u32 v[0:1], s[0:1], s8, v102, 0
	v_mov_b32_e32 v4, v1
	v_mad_u64_u32 v[4:5], s[0:1], s9, v102, v[4:5]
	v_mov_b32_e32 v1, v4
	v_lshl_add_u64 v[6:7], v[2:3], 3, s[10:11]
	v_lshl_add_u64 v[0:1], v[0:1], 3, v[6:7]
	v_add_u32_e32 v5, 26, v102
	global_load_dwordx2 v[26:27], v[0:1], off
	v_mad_u64_u32 v[0:1], s[0:1], s8, v5, 0
	v_mov_b32_e32 v4, v1
	v_mad_u64_u32 v[4:5], s[0:1], s9, v5, v[4:5]
	v_add_u32_e32 v9, 52, v102
	v_mov_b32_e32 v1, v4
	v_mad_u64_u32 v[4:5], s[0:1], s8, v9, 0
	v_mov_b32_e32 v8, v5
	v_mad_u64_u32 v[8:9], s[0:1], s9, v9, v[8:9]
	v_mov_b32_e32 v5, v8
	v_add_u32_e32 v9, 0x4e, v102
	v_lshl_add_u64 v[22:23], v[4:5], 3, v[6:7]
	v_mad_u64_u32 v[4:5], s[0:1], s8, v9, 0
	v_mov_b32_e32 v8, v5
	v_mad_u64_u32 v[8:9], s[0:1], s9, v9, v[8:9]
	v_mov_b32_e32 v5, v8
	v_add_u32_e32 v9, 0x68, v102
	v_lshl_add_u64 v[28:29], v[4:5], 3, v[6:7]
	;; [unrolled: 6-line block ×10, first 2 shown]
	global_load_dwordx2 v[10:11], v[20:21], off
	global_load_dwordx2 v[52:53], v[30:31], off
	;; [unrolled: 1-line block ×4, first 2 shown]
	v_mad_u64_u32 v[20:21], s[0:1], s8, v25, 0
	v_mov_b32_e32 v30, v21
	v_mad_u64_u32 v[30:31], s[0:1], s9, v25, v[30:31]
	v_mov_b32_e32 v21, v30
	v_add_u32_e32 v25, 0x152, v102
	v_lshl_add_u64 v[30:31], v[20:21], 3, v[6:7]
	v_mad_u64_u32 v[20:21], s[0:1], s8, v25, 0
	v_mov_b32_e32 v32, v21
	v_mad_u64_u32 v[32:33], s[0:1], s9, v25, v[32:33]
	v_mov_b32_e32 v21, v32
	v_lshl_add_u64 v[32:33], v[20:21], 3, v[6:7]
	global_load_dwordx2 v[20:21], v[18:19], off
	global_load_dwordx2 v[36:37], v[16:17], off
	;; [unrolled: 1-line block ×4, first 2 shown]
	v_add_u32_e32 v15, 0x16c, v102
	v_mad_u64_u32 v[12:13], s[0:1], s8, v15, 0
	v_mov_b32_e32 v14, v13
	v_mad_u64_u32 v[14:15], s[0:1], s9, v15, v[14:15]
	v_mov_b32_e32 v13, v14
	v_add_u32_e32 v15, 0x186, v102
	v_lshl_add_u64 v[34:35], v[12:13], 3, v[6:7]
	v_mad_u64_u32 v[12:13], s[0:1], s8, v15, 0
	v_mov_b32_e32 v14, v13
	v_mad_u64_u32 v[14:15], s[0:1], s9, v15, v[14:15]
	v_mov_b32_e32 v13, v14
	v_or_b32_e32 v25, 0x1a0, v102
	v_lshl_add_u64 v[42:43], v[12:13], 3, v[6:7]
	global_load_dwordx2 v[18:19], v[30:31], off
	global_load_dwordx2 v[16:17], v[32:33], off
	;; [unrolled: 1-line block ×4, first 2 shown]
	v_mad_u64_u32 v[30:31], s[0:1], s8, v25, 0
	v_mov_b32_e32 v32, v31
	v_mad_u64_u32 v[32:33], s[0:1], s9, v25, v[32:33]
	v_mov_b32_e32 v31, v32
	v_lshl_add_u64 v[0:1], v[0:1], 3, v[6:7]
	v_lshl_add_u64 v[30:31], v[30:31], 3, v[6:7]
	global_load_dwordx2 v[46:47], v[28:29], off
	global_load_dwordx2 v[44:45], v[22:23], off
	;; [unrolled: 1-line block ×4, first 2 shown]
	s_waitcnt vmcnt(16)
	v_mov_b32_e32 v23, v27
	s_waitcnt vmcnt(14)
	v_mov_b32_e32 v22, v53
.LBB0_11:
	s_or_b64 exec, exec, s[6:7]
	v_mov_b32_e32 v103, v102
.LBB0_12:
	s_or_b64 exec, exec, s[2:3]
	s_mov_b32 s0, 0x24924925
	v_mul_hi_u32 v0, v24, s0
	v_sub_u32_e32 v1, v24, v0
	v_lshrrev_b32_e32 v1, 1, v1
	v_add_u32_e32 v0, v1, v0
	v_lshrrev_b32_e32 v0, 2, v0
	v_mul_lo_u32 v0, v0, 7
	s_waitcnt vmcnt(0)
	v_pk_add_f32 v[62:63], v[42:43], v[6:7]
	s_mov_b32 s13, 0x3dbcf732
	s_mov_b32 s12, 0xbe8c1d8e
	;; [unrolled: 1-line block ×4, first 2 shown]
	v_sub_u32_e32 v27, v24, v0
	v_pk_add_f32 v[24:25], v[42:43], v[6:7] neg_lo:[0,1] neg_hi:[0,1]
	v_pk_add_f32 v[60:61], v[44:45], v[12:13]
	v_pk_mul_f32 v[72:73], v[62:63], s[12:13] op_sel_hi:[0,1]
	s_mov_b32 s15, 0xbf7ee86f
	s_mov_b32 s19, 0xbf7ba420
	v_pk_add_f32 v[58:59], v[44:45], v[12:13] neg_lo:[0,1] neg_hi:[0,1]
	v_pk_add_f32 v[56:57], v[46:47], v[14:15]
	v_pk_fma_f32 v[0:1], v[24:25], s[14:15], v[72:73] op_sel:[1,0,0]
	v_pk_mul_f32 v[74:75], v[60:61], s[18:19] op_sel_hi:[0,1]
	s_mov_b32 s21, 0xbe3c28d5
	s_mov_b32 s20, 0x3f06c442
	;; [unrolled: 1-line block ×5, first 2 shown]
	v_pk_add_f32 v[54:55], v[46:47], v[14:15] neg_lo:[0,1] neg_hi:[0,1]
	v_pk_add_f32 v[0:1], v[26:27], v[0:1] op_sel_hi:[0,1]
	v_pk_fma_f32 v[28:29], v[58:59], s[20:21], v[74:75] op_sel:[1,0,0]
	v_pk_mul_f32 v[76:77], v[56:57], s[22:23] op_sel_hi:[0,1]
	s_mov_b32 s25, 0x3f763a35
	v_pk_add_f32 v[64:65], v[40:41], v[16:17]
	s_mov_b32 s27, 0x3f6eb680
	s_mov_b32 s26, 0x3ee437d1
	;; [unrolled: 1-line block ×3, first 2 shown]
	v_pk_add_f32 v[0:1], v[0:1], v[28:29]
	v_pk_fma_f32 v[28:29], v[54:55], s[24:25], v[76:77] op_sel:[1,0,0]
	s_mov_b32 s29, 0x3eb8f4ab
	v_pk_add_f32 v[66:67], v[40:41], v[16:17] neg_lo:[0,1] neg_hi:[0,1]
	v_pk_mul_f32 v[78:79], v[64:65], s[26:27] op_sel_hi:[0,1]
	s_mov_b32 s0, s19
	s_mov_b32 s1, s26
	v_pk_add_f32 v[70:71], v[38:39], v[18:19]
	v_pk_add_f32 v[0:1], v[0:1], v[28:29]
	v_pk_fma_f32 v[28:29], v[66:67], s[28:29], v[78:79] op_sel:[1,0,0]
	s_mov_b32 s36, s21
	s_mov_b32 s37, s28
	v_pk_add_f32 v[68:69], v[38:39], v[18:19] neg_lo:[0,1] neg_hi:[0,1]
	v_pk_mul_f32 v[80:81], v[70:71], s[0:1] op_sel_hi:[0,1]
	s_mov_b32 s2, s13
	s_mov_b32 s3, s18
	v_pk_add_f32 v[50:51], v[36:37], v[4:5]
	v_pk_add_f32 v[0:1], v[0:1], v[28:29]
	v_pk_fma_f32 v[28:29], v[68:69], s[36:37], v[80:81] op_sel:[1,0,0]
	s_mov_b32 s1, 0xbf06c442
	s_mov_b32 s0, 0x3f7ee86f
	v_pk_add_f32 v[34:35], v[36:37], v[4:5] neg_lo:[0,1] neg_hi:[0,1]
	v_pk_mul_f32 v[82:83], v[50:51], s[2:3] op_sel_hi:[0,1]
	s_mov_b32 s35, 0xbf1a4643
	s_mov_b32 s34, s27
	;; [unrolled: 1-line block ×3, first 2 shown]
	v_pk_add_f32 v[48:49], v[20:21], v[8:9]
	v_pk_add_f32 v[0:1], v[28:29], v[0:1]
	v_pk_fma_f32 v[28:29], v[34:35], s[0:1], v[82:83] op_sel:[1,0,0]
	s_mov_b32 s31, 0x3f4c4adb
	v_pk_add_f32 v[32:33], v[20:21], v[8:9] neg_lo:[0,1] neg_hi:[0,1]
	v_pk_mul_f32 v[84:85], v[48:49], s[34:35] op_sel_hi:[0,1]
	v_pk_add_f32 v[0:1], v[0:1], v[28:29]
	v_pk_fma_f32 v[28:29], v[32:33], s[30:31], v[84:85] op_sel:[1,0,0]
	v_mov_b32_e32 v53, v22
	v_pk_add_f32 v[0:1], v[28:29], v[0:1]
	s_mov_b32 s2, s35
	s_mov_b32 s3, s22
	v_pk_add_f32 v[28:29], v[10:11], v[52:53]
	s_mov_b32 s16, 0xbf4c4adb
	s_mov_b32 s17, s24
	v_pk_add_f32 v[30:31], v[10:11], v[52:53] neg_lo:[0,1] neg_hi:[0,1]
	v_pk_mul_f32 v[86:87], v[28:29], s[2:3] op_sel_hi:[0,1]
	v_pk_fma_f32 v[88:89], v[30:31], s[16:17], v[86:87] op_sel:[1,0,0]
	v_mul_u32_u24_e32 v27, 0x1ba, v27
	v_pk_add_f32 v[0:1], v[0:1], v[88:89]
	v_cmp_gt_u32_e64 s[2:3], 26, v102
	v_lshlrev_b32_e32 v104, 2, v27
	s_and_saveexec_b64 s[6:7], s[2:3]
	s_cbranch_execz .LBB0_14
; %bb.13:
	v_pk_mul_f32 v[88:89], v[24:25], s[14:15] op_sel:[1,0]
	v_mov_b32_e32 v27, v26
	v_pk_mul_f32 v[92:93], v[58:59], s[20:21] op_sel:[1,0]
	v_pk_add_f32 v[72:73], v[72:73], v[88:89] neg_lo:[0,1] neg_hi:[0,1]
	v_pk_mul_f32 v[90:91], v[54:55], s[24:25] op_sel:[1,0]
	v_pk_add_f32 v[74:75], v[74:75], v[92:93] neg_lo:[0,1] neg_hi:[0,1]
	v_pk_add_f32 v[72:73], v[26:27], v[72:73]
	v_pk_mul_f32 v[88:89], v[66:67], s[28:29] op_sel:[1,0]
	v_pk_add_f32 v[72:73], v[72:73], v[74:75]
	v_pk_add_f32 v[74:75], v[76:77], v[90:91] neg_lo:[0,1] neg_hi:[0,1]
	v_pk_mul_f32 v[92:93], v[68:69], s[36:37] op_sel:[1,0]
	v_pk_add_f32 v[72:73], v[72:73], v[74:75]
	v_pk_add_f32 v[78:79], v[78:79], v[88:89] neg_lo:[0,1] neg_hi:[0,1]
	;; [unrolled: 3-line block ×4, first 2 shown]
	v_pk_mul_f32 v[88:89], v[30:31], s[16:17] op_sel:[1,0]
	v_mov_b32_e32 v82, v62
	v_mov_b32_e32 v83, v25
	v_pk_add_f32 v[76:77], v[72:73], v[76:77]
	s_mov_b32 s40, s27
	s_mov_b32 s41, s30
	v_pk_add_f32 v[74:75], v[84:85], v[74:75] neg_lo:[0,1] neg_hi:[0,1]
	v_mov_b32_e32 v92, v50
	v_mov_b32_e32 v93, v35
	v_pk_mul_f32 v[84:85], v[82:83], s[40:41]
	s_mov_b32 s42, s35
	s_mov_b32 s43, s16
	v_pk_add_f32 v[76:77], v[74:75], v[76:77]
	v_pk_add_f32 v[78:79], v[86:87], v[88:89] neg_lo:[0,1] neg_hi:[0,1]
	v_mul_u32_u24_e32 v54, 0x44, v102
	v_mov_b32_e32 v80, v48
	v_mov_b32_e32 v81, v33
	v_pk_mul_f32 v[74:75], v[92:93], s[42:43]
	s_mov_b32 s44, s18
	s_mov_b32 s45, s1
	v_add3_u32 v105, 0, v54, v104
	v_pk_add_f32 v[76:77], v[76:77], v[78:79]
	v_mov_b32_e32 v57, v84
	ds_write2_b32 v105, v77, v76 offset0:4 offset1:5
	v_pk_mul_f32 v[76:77], v[80:81], s[44:45]
	v_pk_fma_f32 v[82:83], v[82:83], s[40:41], v[56:57] neg_lo:[1,0,0] neg_hi:[1,0,0]
	v_mov_b32_e32 v57, v74
	v_add_f32_e32 v61, v85, v84
	v_pk_fma_f32 v[84:85], v[92:93], s[42:43], v[56:57] neg_lo:[1,0,0] neg_hi:[1,0,0]
	v_mov_b32_e32 v57, v76
	v_mov_b32_e32 v54, v26
	v_pk_fma_f32 v[86:87], v[80:81], s[44:45], v[56:57] neg_lo:[1,0,0] neg_hi:[1,0,0]
	v_pk_add_f32 v[80:81], v[54:55], v[42:43]
	v_mov_b32_e32 v90, v28
	v_pk_add_f32 v[80:81], v[80:81], v[44:45]
	v_mov_b32_e32 v91, v31
	v_pk_add_f32 v[80:81], v[80:81], v[46:47]
	s_mov_b32 s36, s20
	v_pk_add_f32 v[80:81], v[80:81], v[40:41]
	s_mov_b32 s20, s19
	v_pk_add_f32 v[80:81], v[80:81], v[38:39]
	v_mov_b32_e32 v94, v50
	v_mov_b32_e32 v95, v50
	s_mov_b32 s23, s19
	v_pk_mul_f32 v[78:79], v[90:91], s[20:21]
	v_pk_add_f32 v[80:81], v[80:81], v[36:37]
	v_mov_b32_e32 v63, v62
	v_pk_mul_f32 v[72:73], v[94:95], s[22:23]
	s_mov_b32 s38, 0xbf2c7751
	s_mov_b32 s23, s26
	v_mov_b32_e32 v57, v78
	v_pk_add_f32 v[80:81], v[80:81], v[20:21]
	v_mov_b32_e32 v58, v60
	v_pk_fma_f32 v[88:89], v[90:91], s[20:21], v[56:57] neg_lo:[1,0,0] neg_hi:[1,0,0]
	v_pk_add_f32 v[90:91], v[80:81], v[10:11]
	v_pk_mul_f32 v[80:81], v[62:63], s[22:23]
	s_mov_b32 s23, s38
	v_mov_b32_e32 v91, v83
	v_pk_mul_f32 v[82:83], v[58:59], s[22:23]
	v_mov_b32_e32 v53, v26
	v_mov_b32_e32 v57, v82
	v_add_f32_e32 v10, v53, v61
	v_pk_add_f32 v[52:53], v[90:91], v[52:53]
	v_pk_fma_f32 v[90:91], v[58:59], s[22:23], v[56:57] neg_lo:[1,0,0] neg_hi:[1,0,0]
	v_mov_b32_e32 v54, v56
	v_mov_b32_e32 v90, v8
	s_mov_b32 s56, s27
	s_mov_b32 s55, s27
	;; [unrolled: 1-line block ×5, first 2 shown]
	v_pk_add_f32 v[52:53], v[90:91], v[52:53]
	v_pk_mul_f32 v[90:91], v[54:55], s[26:27]
	v_mov_b32_e32 v66, v64
	v_mov_b32_e32 v57, v90
	v_pk_fma_f32 v[92:93], v[54:55], s[26:27], v[56:57] neg_lo:[1,0,0] neg_hi:[1,0,0]
	s_mov_b32 s40, s13
	v_mov_b32_e32 v92, v4
	s_mov_b32 s41, s15
	v_pk_add_f32 v[52:53], v[92:93], v[52:53]
	v_pk_mul_f32 v[92:93], v[66:67], s[40:41]
	v_mov_b32_e32 v65, v64
	v_mov_b32_e32 v57, v92
	v_pk_fma_f32 v[96:97], v[66:67], s[40:41], v[56:57] neg_lo:[1,0,0] neg_hi:[1,0,0]
	s_mov_b32 s34, s18
	v_mov_b32_e32 v96, v18
	v_pk_add_f32 v[52:53], v[96:97], v[52:53]
	v_mov_b32_e32 v68, v70
	s_mov_b32 s57, s13
	s_mov_b32 s54, s13
	v_pk_mul_f32 v[96:97], v[64:65], s[34:35]
	s_mov_b32 s34, s13
	s_mov_b32 s61, s13
	;; [unrolled: 1-line block ×3, first 2 shown]
	v_pk_mul_f32 v[98:99], v[68:69], s[12:13]
	v_mov_b32_e32 v84, v14
	v_mov_b32_e32 v57, v98
	v_pk_fma_f32 v[100:101], v[68:69], s[12:13], v[56:57] neg_lo:[1,0,0] neg_hi:[1,0,0]
	v_mov_b32_e32 v86, v12
	v_mov_b32_e32 v100, v16
	v_pk_add_f32 v[52:53], v[100:101], v[52:53]
	v_mov_b32_e32 v88, v6
	v_pk_add_f32 v[52:53], v[84:85], v[52:53]
	v_mov_b32_e32 v61, v60
	v_pk_add_f32 v[52:53], v[86:87], v[52:53]
	s_mov_b32 s40, s38
	v_pk_add_f32 v[52:53], v[88:89], v[52:53]
	ds_write2_b32 v105, v52, v53 offset1:1
	v_mov_b32_e32 v52, v25
	v_mov_b32_e32 v53, v25
	s_mov_b32 s41, s28
	v_mov_b32_e32 v84, v59
	v_mov_b32_e32 v85, v59
	s_mov_b32 s42, s15
	v_pk_fma_f32 v[86:87], v[52:53], s[40:41], v[80:81] neg_lo:[1,0,0] neg_hi:[1,0,0]
	v_pk_mul_f32 v[88:89], v[60:61], s[34:35]
	v_pk_add_f32 v[86:87], v[26:27], v[86:87]
	v_pk_fma_f32 v[100:101], v[84:85], s[42:43], v[88:89] neg_lo:[1,0,0] neg_hi:[1,0,0]
	v_mov_b32_e32 v57, v56
	s_mov_b32 s46, s35
	s_mov_b32 s47, s19
	v_pk_add_f32 v[86:87], v[86:87], v[100:101]
	v_mov_b32_e32 v100, v55
	v_mov_b32_e32 v101, v55
	s_mov_b32 s45, 0x3e3c28d5
	s_mov_b32 s44, s16
	v_pk_mul_f32 v[106:107], v[56:57], s[46:47]
	s_mov_b32 s50, s19
	v_pk_fma_f32 v[108:109], v[100:101], s[44:45], v[106:107] neg_lo:[1,0,0] neg_hi:[1,0,0]
	s_mov_b32 s51, s12
	v_pk_add_f32 v[86:87], v[86:87], v[108:109]
	v_mov_b32_e32 v108, v67
	v_mov_b32_e32 v109, v67
	s_mov_b32 s46, s21
	s_mov_b32 s47, s25
	v_pk_mul_f32 v[110:111], v[64:65], s[50:51]
	v_mov_b32_e32 v71, v70
	v_pk_fma_f32 v[112:113], v[108:109], s[46:47], v[110:111] neg_lo:[1,0,0] neg_hi:[1,0,0]
	s_mov_b32 s50, s18
	s_mov_b32 s51, s22
	v_pk_add_f32 v[86:87], v[86:87], v[112:113]
	v_mov_b32_e32 v112, v69
	v_mov_b32_e32 v113, v69
	s_mov_b32 s37, s24
	v_pk_mul_f32 v[114:115], v[70:71], s[50:51]
	s_mov_b32 s48, s12
	v_pk_fma_f32 v[116:117], v[112:113], s[36:37], v[114:115] neg_lo:[1,0,0] neg_hi:[1,0,0]
	v_pk_mul_f32 v[94:95], v[94:95], s[48:49]
	v_pk_add_f32 v[86:87], v[116:117], v[86:87]
	v_mov_b32_e32 v116, v35
	v_mov_b32_e32 v117, v35
	s_mov_b32 s48, s25
	s_mov_b32 s49, s30
	v_pk_fma_f32 v[118:119], v[116:117], s[48:49], v[94:95] neg_lo:[1,0,0] neg_hi:[1,0,0]
	s_mov_b32 s53, 0x3f65296c
	v_pk_add_f32 v[86:87], v[86:87], v[118:119]
	v_mov_b32_e32 v118, v48
	v_mov_b32_e32 v119, v48
	s_mov_b32 s60, s26
	v_mov_b32_e32 v120, v33
	v_mov_b32_e32 v121, v33
	s_mov_b32 s50, s53
	s_mov_b32 s51, s15
	v_pk_mul_f32 v[122:123], v[118:119], s[60:61]
	s_mov_b32 s59, s18
	v_pk_fma_f32 v[124:125], v[120:121], s[50:51], v[122:123] neg_lo:[1,0,0] neg_hi:[1,0,0]
	v_mov_b32_e32 v126, v31
	v_pk_add_f32 v[86:87], v[124:125], v[86:87]
	v_mov_b32_e32 v124, v28
	v_mov_b32_e32 v125, v28
	;; [unrolled: 1-line block ×3, first 2 shown]
	s_mov_b32 s28, s0
	s_mov_b32 s0, s29
	v_pk_mul_f32 v[128:129], v[124:125], s[58:59]
	s_mov_b32 s34, s35
	v_pk_fma_f32 v[130:131], v[126:127], s[0:1], v[128:129] neg_lo:[1,0,0] neg_hi:[1,0,0]
	s_mov_b32 s35, s18
	v_pk_add_f32 v[86:87], v[86:87], v[130:131]
	ds_write2_b32 v105, v86, v87 offset0:2 offset1:3
	s_mov_b32 s17, s1
	s_mov_b32 s58, s12
	;; [unrolled: 1-line block ×3, first 2 shown]
	v_pk_mul_f32 v[86:87], v[62:63], s[34:35]
	s_mov_b32 s52, s25
	v_pk_fma_f32 v[130:131], v[52:53], s[16:17], v[86:87] neg_lo:[1,0,0] neg_hi:[1,0,0]
	v_pk_mul_f32 v[132:133], v[60:61], s[58:59]
	v_pk_add_f32 v[130:131], v[26:27], v[130:131]
	v_pk_fma_f32 v[134:135], v[84:85], s[52:53], v[132:133] neg_lo:[1,0,0] neg_hi:[1,0,0]
	s_mov_b32 s34, s30
	v_pk_add_f32 v[130:131], v[130:131], v[134:135]
	s_mov_b32 s35, s15
	v_pk_mul_f32 v[134:135], v[56:57], s[56:57]
	s_mov_b32 s56, s1
	v_pk_fma_f32 v[136:137], v[100:101], s[34:35], v[134:135] neg_lo:[1,0,0] neg_hi:[1,0,0]
	s_mov_b32 s57, s31
	v_pk_add_f32 v[130:131], v[130:131], v[136:137]
	v_pk_fma_f32 v[136:137], v[108:109], s[56:57], v[96:97] neg_lo:[1,0,0] neg_hi:[1,0,0]
	s_mov_b32 s29, s30
	v_pk_add_f32 v[130:131], v[130:131], v[136:137]
	v_pk_mul_f32 v[136:137], v[70:71], s[54:55]
	s_mov_b32 s39, s21
	v_pk_fma_f32 v[138:139], v[112:113], s[28:29], v[136:137] neg_lo:[1,0,0] neg_hi:[1,0,0]
	s_mov_b32 s18, s19
	s_mov_b32 s19, s22
	v_pk_add_f32 v[130:131], v[138:139], v[130:131]
	v_pk_fma_f32 v[138:139], v[116:117], s[38:39], v[72:73] neg_lo:[1,0,0] neg_hi:[1,0,0]
	v_pk_mul_f32 v[118:119], v[118:119], s[18:19]
	s_mov_b32 s18, s21
	s_mov_b32 s19, s24
	;; [unrolled: 1-line block ×3, first 2 shown]
	v_pk_add_f32 v[130:131], v[130:131], v[138:139]
	v_pk_fma_f32 v[138:139], v[120:121], s[18:19], v[118:119] neg_lo:[1,0,0] neg_hi:[1,0,0]
	v_pk_mul_f32 v[124:125], v[124:125], s[26:27]
	s_mov_b32 s12, s53
	v_pk_add_f32 v[130:131], v[138:139], v[130:131]
	v_pk_fma_f32 v[138:139], v[126:127], s[12:13], v[124:125] neg_lo:[1,0,0] neg_hi:[1,0,0]
	v_mul_f32_e32 v4, 0xbf7ba420, v62
	v_pk_add_f32 v[130:131], v[130:131], v[138:139]
	v_mul_f32_e32 v6, 0xbe3c28d5, v25
	ds_write2_b32 v105, v130, v131 offset0:6 offset1:7
	v_pk_add_f32 v[62:63], v[4:5], v[6:7] neg_lo:[0,1] neg_hi:[0,1]
	v_pk_add_f32 v[130:131], v[4:5], v[6:7]
	v_mul_f32_e32 v4, 0x3f6eb680, v60
	v_mul_f32_e32 v6, 0x3eb8f4ab, v59
	v_mov_b32_e32 v63, v130
	v_pk_add_f32 v[58:59], v[4:5], v[6:7] neg_lo:[0,1] neg_hi:[0,1]
	v_pk_add_f32 v[60:61], v[4:5], v[6:7]
	v_mul_f32_e32 v4, 0xbf59a7d5, v56
	v_mul_f32_e32 v6, 0xbf06c442, v55
	v_mov_b32_e32 v59, v60
	v_pk_add_f32 v[60:61], v[26:27], v[62:63]
	v_pk_add_f32 v[54:55], v[4:5], v[6:7] neg_lo:[0,1] neg_hi:[0,1]
	v_pk_add_f32 v[56:57], v[4:5], v[6:7]
	v_pk_add_f32 v[58:59], v[60:61], v[58:59]
	v_mov_b32_e32 v55, v56
	v_mul_f32_e32 v4, 0x3f3d2fb0, v64
	v_mul_f32_e32 v6, 0x3f2c7751, v67
	v_pk_add_f32 v[54:55], v[58:59], v[54:55]
	v_pk_add_f32 v[56:57], v[4:5], v[6:7] neg_lo:[0,1] neg_hi:[0,1]
	v_pk_add_f32 v[58:59], v[4:5], v[6:7]
	v_mul_f32_e32 v4, 0xbf1a4643, v70
	v_mov_b32_e32 v57, v58
	v_mul_f32_e32 v6, 0xbf4c4adb, v69
	v_pk_add_f32 v[54:55], v[54:55], v[56:57]
	v_pk_add_f32 v[56:57], v[4:5], v[6:7] neg_lo:[0,1] neg_hi:[0,1]
	v_pk_add_f32 v[58:59], v[4:5], v[6:7]
	v_mul_f32_e32 v4, 0x3ee437d1, v50
	v_mov_b32_e32 v57, v58
	;; [unrolled: 6-line block ×4, first 2 shown]
	v_mul_f32_e32 v6, 0x3f7ee86f, v31
	v_pk_add_f32 v[54:55], v[56:57], v[54:55]
	v_pk_add_f32 v[56:57], v[4:5], v[6:7] neg_lo:[0,1] neg_hi:[0,1]
	v_pk_add_f32 v[58:59], v[4:5], v[6:7]
	v_add_f32_e32 v4, v83, v82
	v_mov_b32_e32 v57, v58
	v_pk_add_f32 v[54:55], v[54:55], v[56:57]
	ds_write2_b32 v105, v54, v55 offset0:8 offset1:9
	v_pk_fma_f32 v[54:55], v[52:53], s[16:17], v[86:87]
	v_pk_fma_f32 v[52:53], v[52:53], s[40:41], v[80:81]
	v_pk_add_f32 v[54:55], v[26:27], v[54:55]
	v_pk_fma_f32 v[56:57], v[84:85], s[52:53], v[132:133]
	v_pk_add_f32 v[26:27], v[26:27], v[52:53]
	;; [unrolled: 2-line block ×5, first 2 shown]
	v_pk_fma_f32 v[56:57], v[108:109], s[56:57], v[96:97]
	v_add_f32_e32 v4, v10, v4
	v_add_f32_e32 v6, v91, v90
	v_pk_add_f32 v[26:27], v[26:27], v[52:53]
	v_pk_fma_f32 v[52:53], v[108:109], s[46:47], v[110:111]
	v_pk_add_f32 v[54:55], v[54:55], v[56:57]
	v_pk_fma_f32 v[56:57], v[112:113], s[28:29], v[136:137]
	v_add_f32_e32 v4, v4, v6
	v_add_f32_e32 v6, v93, v92
	v_pk_add_f32 v[26:27], v[26:27], v[52:53]
	v_pk_fma_f32 v[52:53], v[112:113], s[36:37], v[114:115]
	v_pk_add_f32 v[54:55], v[56:57], v[54:55]
	v_add_f32_e32 v4, v4, v6
	v_add_f32_e32 v6, v99, v98
	v_pk_fma_f32 v[56:57], v[116:117], s[38:39], v[72:73]
	v_pk_add_f32 v[26:27], v[52:53], v[26:27]
	v_pk_fma_f32 v[52:53], v[116:117], s[48:49], v[94:95]
	v_add_f32_e32 v4, v6, v4
	v_add_f32_e32 v6, v75, v74
	v_pk_add_f32 v[54:55], v[54:55], v[56:57]
	v_pk_fma_f32 v[56:57], v[120:121], s[18:19], v[118:119]
	v_pk_add_f32 v[26:27], v[26:27], v[52:53]
	v_pk_fma_f32 v[52:53], v[120:121], s[50:51], v[122:123]
	v_add_f32_e32 v4, v4, v6
	v_add_f32_e32 v6, v77, v76
	v_pk_add_f32 v[54:55], v[56:57], v[54:55]
	;; [unrolled: 6-line block ×3, first 2 shown]
	v_pk_add_f32 v[26:27], v[26:27], v[52:53]
	v_add_f32_e32 v6, v4, v6
	ds_write2_b32 v105, v55, v54 offset0:10 offset1:11
	ds_write2_b32 v105, v0, v1 offset0:12 offset1:13
	v_mov_b32_e32 v4, v27
	ds_write2_b32 v105, v27, v26 offset0:14 offset1:15
	ds_write_b32 v105, v6 offset:64
.LBB0_14:
	s_or_b64 exec, exec, s[6:7]
	v_lshlrev_b32_e32 v4, 2, v102
	v_add3_u32 v106, 0, v104, v4
	v_add_u32_e32 v4, 0, v4
	v_add_u32_e32 v105, v4, v104
	v_add_u32_e32 v6, 0x200, v105
	s_waitcnt lgkmcnt(0)
	s_barrier
	ds_read2_b32 v[54:55], v105 offset0:170 offset1:221
	ds_read2_b32 v[56:57], v105 offset0:34 offset1:68
	;; [unrolled: 1-line block ×4, first 2 shown]
	v_add_u32_e32 v6, 0x400, v105
	ds_read2_b32 v[26:27], v6 offset0:67 offset1:101
	ds_read_b32 v108, v106
	ds_read_b32 v107, v105 offset:1564
	v_cmp_gt_u32_e64 s[0:1], 17, v102
	s_and_saveexec_b64 s[6:7], s[0:1]
	s_cbranch_execz .LBB0_16
; %bb.15:
	v_add_u32_e32 v0, 0x300, v105
	ds_read2_b32 v[0:1], v0 offset0:12 offset1:233
.LBB0_16:
	s_or_b64 exec, exec, s[6:7]
	v_pk_add_f32 v[60:61], v[22:23], v[42:43]
	v_mov_b32_e32 v62, v45
	v_pk_add_f32 v[60:61], v[60:61], v[44:45]
	v_mov_b32_e32 v63, v47
	;; [unrolled: 2-line block ×5, first 2 shown]
	s_mov_b32 s6, 0xbf763a35
	v_pk_add_f32 v[90:91], v[44:45], v[46:47] neg_lo:[0,1] neg_hi:[0,1]
	v_mov_b32_e32 v44, v39
	v_mov_b32_e32 v45, v41
	;; [unrolled: 1-line block ×7, first 2 shown]
	s_mov_b32 s12, 0xbe8c1d8e
	s_mov_b32 s7, 0xbf7ee86f
	v_mov_b32_e32 v64, v13
	v_mov_b32_e32 v65, v15
	v_pk_add_f32 v[98:99], v[38:39], v[40:41] neg_lo:[0,1] neg_hi:[0,1]
	v_pk_add_f32 v[100:101], v[42:43], v[6:7]
	s_mov_b32 s13, 0x3dbcf732
	v_pk_mul_f32 v[38:39], v[24:25], s[6:7] op_sel_hi:[0,1]
	s_mov_b32 s16, 0xbf59a7d5
	s_mov_b32 s20, 0x3f06c442
	;; [unrolled: 1-line block ×3, first 2 shown]
	v_pk_add_f32 v[96:97], v[62:63], v[64:65]
	v_pk_fma_f32 v[36:37], v[100:101], s[12:13], v[38:39] op_sel:[1,0,0] neg_lo:[0,0,1] neg_hi:[0,0,1]
	s_mov_b32 s17, 0xbf7ba420
	v_pk_mul_f32 v[42:43], v[90:91], s[20:21] op_sel_hi:[0,1]
	s_mov_b32 s29, 0x3f763a35
	s_mov_b32 s28, s25
	;; [unrolled: 1-line block ×3, first 2 shown]
	v_mov_b32_e32 v46, v19
	v_mov_b32_e32 v47, v17
	v_pk_add_f32 v[36:37], v[22:23], v[36:37] op_sel:[1,0]
	v_pk_fma_f32 v[40:41], v[96:97], s[16:17], v[42:43] op_sel_hi:[0,1,1] neg_lo:[0,0,1] neg_hi:[0,0,1]
	s_mov_b32 s23, s12
	v_pk_mul_f32 v[60:61], v[90:91], s[28:29] op_sel:[1,0]
	s_mov_b32 s37, 0x3eb8f4ab
	v_pk_add_f32 v[94:95], v[44:45], v[46:47]
	v_pk_add_f32 v[36:37], v[36:37], v[40:41]
	v_pk_fma_f32 v[40:41], v[96:97], s[22:23], v[60:61] op_sel:[1,0,0] neg_lo:[0,0,1] neg_hi:[0,0,1]
	s_mov_b32 s15, 0x3f6eb680
	s_mov_b32 s14, 0x3ee437d1
	v_pk_mul_f32 v[72:73], v[98:99], s[36:37] op_sel:[1,0]
	s_mov_b32 s18, s21
	s_mov_b32 s19, s36
	v_pk_add_f32 v[36:37], v[36:37], v[40:41]
	v_pk_fma_f32 v[40:41], v[94:95], s[14:15], v[72:73] op_sel:[1,0,0] neg_lo:[0,0,1] neg_hi:[0,0,1]
	s_mov_b32 s40, s17
	s_mov_b32 s41, s14
	v_pk_mul_f32 v[74:75], v[98:99], s[18:19] op_sel_hi:[0,1]
	s_mov_b32 s31, 0xbf06c442
	s_mov_b32 s30, 0x3f7ee86f
	;; [unrolled: 1-line block ×3, first 2 shown]
	v_pk_add_f32 v[36:37], v[36:37], v[40:41]
	v_pk_fma_f32 v[40:41], v[94:95], s[40:41], v[74:75] op_sel_hi:[0,1,1] neg_lo:[0,0,1] neg_hi:[0,0,1]
	s_mov_b32 s42, s13
	s_mov_b32 s43, s16
	v_pk_mul_f32 v[76:77], v[34:35], s[30:31] op_sel_hi:[0,1]
	s_mov_b32 s35, 0x3f4c4adb
	v_pk_add_f32 v[36:37], v[40:41], v[36:37]
	v_pk_fma_f32 v[40:41], v[50:51], s[42:43], v[76:77] op_sel:[1,0,0] neg_lo:[0,0,1] neg_hi:[0,0,1]
	s_mov_b32 s27, 0xbf1a4643
	s_mov_b32 s26, s15
	v_pk_mul_f32 v[78:79], v[32:33], s[34:35] op_sel_hi:[0,1]
	s_mov_b32 s24, 0xbf4c4adb
	v_pk_add_f32 v[36:37], v[36:37], v[40:41]
	v_pk_fma_f32 v[40:41], v[48:49], s[26:27], v[78:79] op_sel:[1,0,0] neg_lo:[0,0,1] neg_hi:[0,0,1]
	s_mov_b32 s44, s27
	s_mov_b32 s45, s22
	v_pk_mul_f32 v[80:81], v[30:31], s[24:25] op_sel_hi:[0,1]
	v_pk_add_f32 v[36:37], v[40:41], v[36:37]
	v_pk_fma_f32 v[40:41], v[28:29], s[44:45], v[80:81] op_sel:[1,0,0] neg_lo:[0,0,1] neg_hi:[0,0,1]
	s_waitcnt lgkmcnt(0)
	v_pk_add_f32 v[36:37], v[36:37], v[40:41]
	s_barrier
	s_and_saveexec_b64 s[18:19], s[2:3]
	s_cbranch_execz .LBB0_18
; %bb.17:
	v_pk_mul_f32 v[110:111], v[96:97], s[22:23] op_sel:[1,0]
	v_mov_b32_e32 v92, v96
	v_mov_b32_e32 v93, v90
	s_mov_b32 s23, 0xbf2c7751
	v_pk_mul_f32 v[112:113], v[92:93], s[22:23]
	s_mov_b32 s38, s37
	s_mov_b32 s39, s31
	v_mov_b32_e32 v88, v90
	v_mov_b32_e32 v89, v90
	;; [unrolled: 1-line block ×3, first 2 shown]
	v_sub_f32_e32 v109, v112, v113
	v_pk_mul_f32 v[112:113], v[90:91], s[38:39]
	v_mov_b32_e32 v90, v97
	s_mov_b32 s2, s14
	s_mov_b32 s3, s36
	v_pk_fma_f32 v[114:115], v[92:93], s[22:23], v[30:31]
	v_pk_mul_f32 v[92:93], v[90:91], s[2:3]
	v_mov_b32_e32 v86, v91
	v_mov_b32_e32 v31, v92
	;; [unrolled: 1-line block ×3, first 2 shown]
	v_pk_fma_f32 v[116:117], v[90:91], s[2:3], v[30:31]
	v_mov_b32_e32 v90, v95
	v_mov_b32_e32 v91, v99
	s_mov_b32 s2, s13
	s_mov_b32 s3, s7
	v_sub_f32_e32 v132, v92, v93
	v_pk_mul_f32 v[92:93], v[90:91], s[2:3]
	v_mov_b32_e32 v131, 0x3f6eb680
	v_mov_b32_e32 v31, v92
	v_pk_fma_f32 v[118:119], v[90:91], s[2:3], v[30:31]
	v_mov_b32_e32 v90, v94
	v_mov_b32_e32 v91, v98
	s_mov_b32 s2, s12
	s_mov_b32 s3, s6
	v_sub_f32_e32 v133, v92, v93
	v_pk_mul_f32 v[92:93], v[90:91], s[2:3]
	v_mov_b32_e32 v130, v21
	v_mov_b32_e32 v31, v92
	v_pk_fma_f32 v[120:121], v[90:91], s[2:3], v[30:31]
	v_sub_f32_e32 v134, v92, v93
	v_mov_b32_e32 v92, v51
	v_mov_b32_e32 v93, v34
	s_mov_b32 s2, s27
	s_mov_b32 s3, s24
	v_pk_mul_f32 v[122:123], v[92:93], s[2:3]
	s_mov_b32 s46, s16
	v_mov_b32_e32 v31, v122
	v_pk_fma_f32 v[124:125], v[92:93], s[2:3], v[30:31]
	s_mov_b32 s3, 0x3f65296c
	s_mov_b32 s2, s14
	v_pk_mul_f32 v[126:127], v[92:93], s[2:3]
	s_mov_b32 s47, s31
	v_mov_b32_e32 v6, v127
	v_mov_b32_e32 v31, v126
	;; [unrolled: 1-line block ×4, first 2 shown]
	v_pk_add_f32 v[20:21], v[100:101], v[130:131]
	v_pk_mul_f32 v[130:131], v[100:101], v[130:131]
	v_pk_mul_f32 v[128:129], v[126:127], s[46:47]
	v_mov_b32_e32 v10, v11
	v_mul_f32_e32 v11, 0xbeb8f4ab, v24
	v_mov_b32_e32 v21, v131
	v_pk_fma_f32 v[90:91], v[92:93], s[2:3], v[6:7]
	v_pk_fma_f32 v[92:93], v[92:93], s[2:3], v[30:31] neg_lo:[1,0,0] neg_hi:[1,0,0]
	v_mov_b32_e32 v31, v128
	v_pk_add_f32 v[10:11], v[20:21], v[10:11]
	v_mov_b32_e32 v40, v101
	v_mov_b32_e32 v84, v99
	;; [unrolled: 1-line block ×5, first 2 shown]
	v_pk_fma_f32 v[126:127], v[126:127], s[46:47], v[30:31]
	v_mov_b32_e32 v114, v9
	v_pk_add_f32 v[10:11], v[10:11], v[22:23]
	v_pk_mul_f32 v[98:99], v[98:99], s[24:25]
	v_mov_b32_e32 v62, v95
	v_mov_b32_e32 v63, v95
	;; [unrolled: 1-line block ×4, first 2 shown]
	v_pk_add_f32 v[10:11], v[114:115], v[10:11]
	v_pk_mul_f32 v[114:115], v[94:95], s[14:15] op_sel:[1,0]
	v_sub_f32_e32 v22, v122, v123
	v_pk_fma_f32 v[122:123], v[94:95], s[44:45], v[98:99]
	v_pk_fma_f32 v[98:99], v[94:95], s[44:45], v[98:99] neg_lo:[0,0,1] neg_hi:[0,0,1]
	v_pk_mul_f32 v[94:95], v[94:95], s[40:41] op_sel_hi:[0,1]
	v_mov_b32_e32 v126, v13
	v_mov_b32_e32 v12, v40
	v_mov_b32_e32 v13, v24
	s_mov_b32 s40, s17
	s_mov_b32 s41, s21
	v_mov_b32_e32 v124, v15
	v_pk_mul_f32 v[14:15], v[12:13], s[40:41]
	s_mov_b32 s46, s15
	v_mov_b32_e32 v6, v15
	s_mov_b32 s47, s16
	v_pk_fma_f32 v[14:15], v[12:13], s[40:41], v[6:7]
	v_mov_b32_e32 v16, v23
	v_pk_fma_f32 v[8:9], v[96:97], s[46:47], v[112:113]
	v_fmac_f32_e32 v131, 0x3eb8f4ab, v24
	v_pk_add_f32 v[14:15], v[16:17], v[14:15]
	v_pk_fma_f32 v[12:13], v[12:13], s[40:41], v[6:7] neg_lo:[0,0,1] neg_hi:[0,0,1]
	v_pk_fma_f32 v[112:113], v[96:97], s[46:47], v[112:113] neg_lo:[0,0,1] neg_hi:[0,0,1]
	v_mov_b32_e32 v116, v5
	v_add_f32_e32 v5, v23, v131
	v_pk_add_f32 v[12:13], v[16:17], v[12:13]
	v_pk_add_f32 v[14:15], v[14:15], v[8:9]
	v_mov_b32_e32 v6, v9
	v_add_f32_e32 v5, v5, v109
	v_pk_add_f32 v[12:13], v[12:13], v[112:113]
	v_pk_add_f32 v[8:9], v[14:15], v[6:7]
	v_mov_b32_e32 v6, v113
	v_add_f32_e32 v5, v5, v132
	v_pk_add_f32 v[12:13], v[12:13], v[6:7]
	v_mov_b32_e32 v6, v123
	v_add_f32_e32 v5, v5, v133
	v_pk_add_f32 v[8:9], v[8:9], v[6:7]
	v_mov_b32_e32 v6, v99
	v_pk_add_f32 v[10:11], v[116:117], v[10:11]
	v_mov_b32_e32 v118, v19
	v_pk_add_f32 v[12:13], v[12:13], v[6:7]
	v_add_f32_e32 v5, v134, v5
	v_mov_b32_e32 v14, v29
	v_mov_b32_e32 v15, v30
	v_pk_add_f32 v[10:11], v[118:119], v[10:11]
	v_mov_b32_e32 v120, v17
	v_pk_add_f32 v[12:13], v[98:99], v[12:13]
	v_add_f32_e32 v5, v5, v22
	v_sub_f32_e32 v6, v128, v129
	v_pk_mul_f32 v[16:17], v[14:15], s[40:41]
	v_pk_add_f32 v[10:11], v[120:121], v[10:11]
	v_add_f32_e32 v13, v6, v5
	v_mov_b32_e32 v5, v16
	v_pk_add_f32 v[10:11], v[124:125], v[10:11]
	v_pk_fma_f32 v[14:15], v[14:15], s[40:41], v[4:5]
	v_mov_b32_e32 v25, v24
	v_mov_b32_e32 v35, v34
	v_pk_add_f32 v[10:11], v[126:127], v[10:11]
	v_mov_b32_e32 v14, v7
	s_mov_b32 s40, s23
	s_mov_b32 s41, s36
	;; [unrolled: 1-line block ×4, first 2 shown]
	v_mov_b32_e32 v41, v101
	v_pk_add_f32 v[10:11], v[14:15], v[10:11]
	v_pk_mul_f32 v[14:15], v[24:25], s[40:41]
	s_mov_b32 s36, s7
	s_mov_b32 s37, s24
	v_pk_mul_f32 v[124:125], v[34:35], s[48:49]
	s_mov_b32 s48, s22
	s_mov_b32 s49, s14
	v_mov_b32_e32 v44, v96
	v_mov_b32_e32 v45, v96
	;; [unrolled: 1-line block ×4, first 2 shown]
	v_pk_mul_f32 v[116:117], v[48:49], s[26:27] op_sel:[1,0]
	v_sub_f32_e32 v5, v16, v17
	s_mov_b32 s26, s13
	v_pk_mul_f32 v[16:17], v[88:89], s[36:37]
	s_mov_b32 s41, 0x3e3c28d5
	s_mov_b32 s40, s24
	v_pk_fma_f32 v[128:129], v[40:41], s[48:49], v[14:15]
	v_mov_b32_e32 v46, v97
	v_mov_b32_e32 v47, v97
	;; [unrolled: 1-line block ×4, first 2 shown]
	v_mul_f32_e32 v6, 0xbe8c1d8e, v49
	v_pk_fma_f32 v[22:23], v[44:45], s[26:27], v[16:17]
	s_mov_b32 s36, s27
	s_mov_b32 s37, s17
	v_pk_mul_f32 v[48:49], v[86:87], s[40:41]
	s_mov_b32 s28, s21
	v_pk_add_f32 v[128:129], v[70:71], v[128:129]
	v_pk_mul_f32 v[18:19], v[28:29], s[44:45] op_sel:[1,0]
	v_pk_fma_f32 v[98:99], v[46:47], s[36:37], v[48:49]
	s_mov_b32 s40, s17
	s_mov_b32 s41, s12
	v_pk_mul_f32 v[112:113], v[84:85], s[28:29]
	s_mov_b32 s44, s20
	s_mov_b32 s45, s25
	v_pk_add_f32 v[22:23], v[128:129], v[22:23]
	v_mov_b32_e32 v68, v51
	v_mov_b32_e32 v69, v51
	v_pk_mul_f32 v[50:51], v[50:51], s[42:43] op_sel:[1,0]
	v_pk_fma_f32 v[118:119], v[62:63], s[40:41], v[112:113]
	s_mov_b32 s42, s16
	s_mov_b32 s43, s22
	v_pk_mul_f32 v[120:121], v[82:83], s[44:45]
	v_pk_add_f32 v[22:23], v[22:23], v[98:99]
	v_mov_b32_e32 v33, v32
	v_pk_add_f32 v[8:9], v[122:123], v[8:9]
	v_pk_fma_f32 v[122:123], v[64:65], s[42:43], v[120:121]
	s_mov_b32 s44, s12
	s_mov_b32 s45, s15
	v_pk_add_f32 v[22:23], v[22:23], v[118:119]
	s_mov_b32 s52, s3
	s_mov_b32 s53, s7
	v_pk_fma_f32 v[14:15], v[40:41], s[48:49], v[14:15] neg_lo:[0,0,1] neg_hi:[0,0,1]
	v_pk_fma_f32 v[126:127], v[68:69], s[44:45], v[124:125]
	v_pk_add_f32 v[22:23], v[122:123], v[22:23]
	s_mov_b32 s50, s14
	s_mov_b32 s51, s13
	v_pk_mul_f32 v[98:99], v[32:33], s[52:53]
	v_pk_fma_f32 v[16:17], v[44:45], s[26:27], v[16:17] neg_lo:[0,0,1] neg_hi:[0,0,1]
	v_pk_add_f32 v[14:15], v[70:71], v[14:15]
	v_mov_b32_e32 v31, v30
	v_pk_add_f32 v[22:23], v[22:23], v[126:127]
	v_pk_fma_f32 v[118:119], v[66:67], s[50:51], v[98:99]
	v_pk_fma_f32 v[48:49], v[46:47], s[36:37], v[48:49] neg_lo:[0,0,1] neg_hi:[0,0,1]
	v_pk_add_f32 v[14:15], v[14:15], v[16:17]
	v_mov_b32_e32 v20, v29
	v_mov_b32_e32 v21, v29
	v_pk_add_f32 v[22:23], v[118:119], v[22:23]
	v_pk_mul_f32 v[118:119], v[30:31], s[38:39]
	v_pk_fma_f32 v[112:113], v[62:63], s[40:41], v[112:113] neg_lo:[0,0,1] neg_hi:[0,0,1]
	v_pk_add_f32 v[14:15], v[14:15], v[48:49]
	v_pk_fma_f32 v[122:123], v[20:21], s[46:47], v[118:119]
	v_pk_fma_f32 v[120:121], v[64:65], s[42:43], v[120:121] neg_lo:[0,0,1] neg_hi:[0,0,1]
	v_pk_add_f32 v[14:15], v[14:15], v[112:113]
	v_pk_add_f32 v[22:23], v[22:23], v[122:123]
	v_pk_fma_f32 v[122:123], v[68:69], s[44:45], v[124:125] neg_lo:[0,0,1] neg_hi:[0,0,1]
	v_pk_add_f32 v[14:15], v[120:121], v[14:15]
	v_pk_fma_f32 v[16:17], v[66:67], s[50:51], v[98:99] neg_lo:[0,0,1] neg_hi:[0,0,1]
	v_pk_add_f32 v[14:15], v[14:15], v[122:123]
	v_pk_mul_f32 v[100:101], v[100:101], s[12:13] op_sel:[1,0]
	v_pk_add_f32 v[14:15], v[16:17], v[14:15]
	v_pk_fma_f32 v[16:17], v[20:21], s[46:47], v[118:119] neg_lo:[0,0,1] neg_hi:[0,0,1]
	v_pk_mul_f32 v[96:97], v[96:97], s[16:17] op_sel_hi:[0,1]
	v_pk_add_f32 v[14:15], v[14:15], v[16:17]
	v_pk_add_f32 v[16:17], v[100:101], v[38:39]
	;; [unrolled: 1-line block ×7, first 2 shown]
	s_mov_b32 s36, s24
	v_pk_add_f32 v[16:17], v[16:17], v[38:39]
	v_pk_add_f32 v[38:39], v[114:115], v[72:73]
	s_mov_b32 s37, s31
	v_pk_add_f32 v[16:17], v[16:17], v[38:39]
	v_pk_add_f32 v[38:39], v[94:95], v[74:75]
	s_mov_b32 s38, s34
	v_pk_add_f32 v[16:17], v[38:39], v[16:17]
	v_pk_add_f32 v[38:39], v[50:51], v[76:77]
	s_mov_b32 s39, s7
	v_pk_add_f32 v[16:17], v[16:17], v[38:39]
	v_pk_add_f32 v[38:39], v[116:117], v[78:79]
	s_mov_b32 s2, s29
	v_pk_add_f32 v[16:17], v[38:39], v[16:17]
	v_pk_mul_f32 v[42:43], v[86:87], s[38:39]
	v_pk_add_f32 v[16:17], v[16:17], v[18:19]
	v_pk_mul_f32 v[18:19], v[24:25], s[36:37]
	s_mov_b32 s38, s31
	s_mov_b32 s39, s35
	;; [unrolled: 1-line block ×7, first 2 shown]
	v_pk_mul_f32 v[24:25], v[88:89], s[2:3]
	v_pk_fma_f32 v[78:79], v[40:41], s[34:35], v[18:19]
	v_pk_fma_f32 v[38:39], v[44:45], s[36:37], v[24:25]
	s_mov_b32 s28, s15
	s_mov_b32 s29, s13
	v_pk_add_f32 v[78:79], v[70:71], v[78:79]
	v_pk_fma_f32 v[18:19], v[40:41], s[34:35], v[18:19] neg_lo:[0,0,1] neg_hi:[0,0,1]
	v_pk_fma_f32 v[48:49], v[46:47], s[28:29], v[42:43]
	s_mov_b32 s26, s16
	v_pk_mul_f32 v[50:51], v[84:85], s[38:39]
	v_pk_add_f32 v[38:39], v[78:79], v[38:39]
	v_pk_fma_f32 v[24:25], v[44:45], s[36:37], v[24:25] neg_lo:[0,0,1] neg_hi:[0,0,1]
	v_pk_add_f32 v[18:19], v[70:71], v[18:19]
	v_pk_fma_f32 v[60:61], v[62:63], s[26:27], v[50:51]
	s_mov_b32 s38, s13
	s_mov_b32 s39, s15
	v_pk_mul_f32 v[72:73], v[82:83], s[30:31]
	s_mov_b32 s20, s23
	v_pk_add_f32 v[38:39], v[38:39], v[48:49]
	v_pk_fma_f32 v[42:43], v[46:47], s[28:29], v[42:43] neg_lo:[0,0,1] neg_hi:[0,0,1]
	v_pk_add_f32 v[18:19], v[18:19], v[24:25]
	v_pk_fma_f32 v[74:75], v[64:65], s[38:39], v[72:73]
	s_mov_b32 s30, s22
	s_mov_b32 s31, s17
	v_pk_mul_f32 v[34:35], v[34:35], s[20:21]
	v_pk_add_f32 v[38:39], v[38:39], v[60:61]
	s_mov_b32 s24, s21
	v_pk_fma_f32 v[44:45], v[62:63], s[26:27], v[50:51] neg_lo:[0,0,1] neg_hi:[0,0,1]
	v_pk_add_f32 v[18:19], v[18:19], v[42:43]
	v_mul_f32_e32 v92, 0xbf763a35, v32
	v_pk_fma_f32 v[76:77], v[68:69], s[30:31], v[34:35]
	v_pk_add_f32 v[38:39], v[74:75], v[38:39]
	s_mov_b32 s16, s17
	s_mov_b32 s17, s22
	v_pk_mul_f32 v[32:33], v[32:33], s[24:25]
	v_pk_fma_f32 v[46:47], v[64:65], s[38:39], v[72:73] neg_lo:[0,0,1] neg_hi:[0,0,1]
	v_pk_add_f32 v[18:19], v[18:19], v[44:45]
	v_pk_add_f32 v[38:39], v[38:39], v[76:77]
	v_pk_fma_f32 v[48:49], v[66:67], s[16:17], v[32:33]
	s_mov_b32 s2, s3
	s_mov_b32 s3, s6
	v_pk_fma_f32 v[34:35], v[68:69], s[30:31], v[34:35] neg_lo:[0,0,1] neg_hi:[0,0,1]
	v_pk_add_f32 v[18:19], v[46:47], v[18:19]
	v_pk_add_f32 v[38:39], v[48:49], v[38:39]
	s_mov_b32 s15, s12
	v_pk_mul_f32 v[48:49], v[30:31], s[2:3]
	v_pk_add_f32 v[18:19], v[18:19], v[34:35]
	v_pk_fma_f32 v[24:25], v[66:67], s[16:17], v[32:33] neg_lo:[0,0,1] neg_hi:[0,0,1]
	v_pk_fma_f32 v[60:61], v[20:21], s[14:15], v[48:49]
	v_pk_add_f32 v[18:19], v[24:25], v[18:19]
	v_pk_fma_f32 v[20:21], v[20:21], s[14:15], v[48:49] neg_lo:[0,0,1] neg_hi:[0,0,1]
	v_mov_b32_e32 v7, v12
	v_add_f32_e32 v109, v13, v5
	v_pk_add_f32 v[18:19], v[18:19], v[20:21]
	v_mul_f32_e32 v20, 0x3dbcf732, v29
	v_pk_add_f32 v[12:13], v[6:7], v[92:93]
	v_mov_b32_e32 v28, v8
	v_mov_b32_e32 v29, v6
	v_mov_b32_e32 v6, v90
	v_mov_b32_e32 v7, v92
	v_pk_add_f32 v[8:9], v[8:9], v[90:91]
	v_pk_add_f32 v[6:7], v[28:29], v[6:7] neg_lo:[0,1] neg_hi:[0,1]
	v_mul_f32_e32 v24, 0x3f7ee86f, v30
	v_mov_b32_e32 v9, v7
	v_pk_add_f32 v[6:7], v[12:13], v[8:9]
	v_pk_add_f32 v[8:9], v[20:21], v[24:25]
	v_pk_add_f32 v[12:13], v[20:21], v[24:25] neg_lo:[0,1] neg_hi:[0,1]
	v_lshlrev_b32_e32 v5, 6, v102
	v_mov_b32_e32 v9, v12
	v_pk_add_f32 v[6:7], v[6:7], v[8:9]
	v_add3_u32 v8, v4, v5, v104
	v_pk_add_f32 v[38:39], v[38:39], v[60:61]
	ds_write2_b32 v8, v10, v11 offset1:1
	ds_write2_b32 v8, v22, v23 offset0:2 offset1:3
	ds_write2_b32 v8, v17, v16 offset0:4 offset1:5
	;; [unrolled: 1-line block ×7, first 2 shown]
	ds_write_b32 v8, v109 offset:64
.LBB0_18:
	s_or_b64 exec, exec, s[18:19]
	v_add_u32_e32 v6, 0x200, v105
	v_add_u32_e32 v10, 0x400, v105
	s_waitcnt lgkmcnt(0)
	s_barrier
	ds_read2_b32 v[4:5], v105 offset0:170 offset1:221
	ds_read2_b32 v[8:9], v105 offset0:34 offset1:68
	ds_read2_b32 v[12:13], v6 offset0:127 offset1:161
	ds_read2_b32 v[6:7], v105 offset0:102 offset1:136
	ds_read2_b32 v[10:11], v10 offset0:67 offset1:101
	ds_read_b32 v30, v106
	ds_read_b32 v31, v105 offset:1564
	s_and_saveexec_b64 s[2:3], s[0:1]
	s_cbranch_execz .LBB0_20
; %bb.19:
	v_add_u32_e32 v14, 0x300, v105
	ds_read2_b32 v[36:37], v14 offset0:12 offset1:233
.LBB0_20:
	s_or_b64 exec, exec, s[2:3]
	v_add_u16_e32 v16, 34, v102
	s_movk_i32 s2, 0xf1
	v_mul_lo_u16_sdwa v17, v16, s2 dst_sel:DWORD dst_unused:UNUSED_PAD src0_sel:BYTE_0 src1_sel:DWORD
	v_subrev_u32_e32 v14, 17, v102
	v_lshrrev_b16_e32 v33, 12, v17
	v_cndmask_b32_e64 v34, v14, v102, s[0:1]
	v_mov_b32_e32 v35, 0
	v_mul_lo_u16_e32 v17, 17, v33
	v_lshl_add_u64 v[14:15], v[34:35], 3, s[4:5]
	v_sub_u16_e32 v35, v16, v17
	v_add_u16_e32 v16, 0x44, v102
	v_mul_lo_u16_sdwa v17, v16, s2 dst_sel:DWORD dst_unused:UNUSED_PAD src0_sel:BYTE_0 src1_sel:DWORD
	v_lshrrev_b16_e32 v40, 12, v17
	v_mul_lo_u16_e32 v17, 17, v40
	v_sub_u16_e32 v41, v16, v17
	v_add_u16_e32 v16, 0x66, v102
	v_mul_lo_u16_sdwa v17, v16, s2 dst_sel:DWORD dst_unused:UNUSED_PAD src0_sel:BYTE_0 src1_sel:DWORD
	v_lshrrev_b16_e32 v42, 12, v17
	v_mul_lo_u16_e32 v17, 17, v42
	v_mov_b32_e32 v32, 3
	v_sub_u16_e32 v43, v16, v17
	v_lshlrev_b32_sdwa v24, v32, v35 dst_sel:DWORD dst_unused:UNUSED_PAD src0_sel:DWORD src1_sel:BYTE_0
	v_lshlrev_b32_sdwa v25, v32, v41 dst_sel:DWORD dst_unused:UNUSED_PAD src0_sel:DWORD src1_sel:BYTE_0
	;; [unrolled: 1-line block ×3, first 2 shown]
	global_load_dwordx2 v[22:23], v[14:15], off
	global_load_dwordx2 v[20:21], v24, s[4:5]
	global_load_dwordx2 v[18:19], v25, s[4:5]
	;; [unrolled: 1-line block ×3, first 2 shown]
	v_add_u16_e32 v14, 0x88, v102
	v_mul_lo_u16_sdwa v15, v14, s2 dst_sel:DWORD dst_unused:UNUSED_PAD src0_sel:BYTE_0 src1_sel:DWORD
	v_lshrrev_b16_e32 v44, 12, v15
	v_mul_lo_u16_e32 v15, 17, v44
	v_sub_u16_e32 v45, v14, v15
	v_add_u16_e32 v15, 0xaa, v102
	v_mul_lo_u16_sdwa v24, v15, s2 dst_sel:DWORD dst_unused:UNUSED_PAD src0_sel:BYTE_0 src1_sel:DWORD
	v_lshrrev_b16_e32 v46, 12, v24
	v_mul_lo_u16_e32 v24, 17, v46
	v_lshlrev_b32_sdwa v14, v32, v45 dst_sel:DWORD dst_unused:UNUSED_PAD src0_sel:DWORD src1_sel:BYTE_0
	v_sub_u16_e32 v47, v15, v24
	v_lshlrev_b32_sdwa v15, v32, v47 dst_sel:DWORD dst_unused:UNUSED_PAD src0_sel:DWORD src1_sel:BYTE_0
	global_load_dwordx2 v[28:29], v14, s[4:5]
	global_load_dwordx2 v[24:25], v15, s[4:5]
	v_add_u16_e32 v14, 0xcc, v102
	v_mul_lo_u16_sdwa v15, v14, s2 dst_sel:DWORD dst_unused:UNUSED_PAD src0_sel:BYTE_0 src1_sel:DWORD
	v_lshrrev_b16_e32 v15, 12, v15
	v_mul_lo_u16_e32 v15, 17, v15
	v_sub_u16_e32 v38, v14, v15
	v_lshlrev_b32_sdwa v14, v32, v38 dst_sel:DWORD dst_unused:UNUSED_PAD src0_sel:DWORD src1_sel:BYTE_0
	global_load_dwordx2 v[14:15], v14, s[4:5]
	v_mov_b32_e32 v39, 0x88
	v_cmp_lt_u32_e64 s[2:3], 16, v102
	s_movk_i32 s6, 0x88
	v_mov_b32_e32 v32, 2
	v_cndmask_b32_e64 v39, 0, v39, s[2:3]
	v_add_u32_e32 v39, 0, v39
	v_lshlrev_b32_e32 v34, 2, v34
	v_mad_u32_u24 v33, v33, s6, 0
	v_lshlrev_b32_sdwa v35, v32, v35 dst_sel:DWORD dst_unused:UNUSED_PAD src0_sel:DWORD src1_sel:BYTE_0
	v_add3_u32 v39, v39, v34, v104
	v_mad_u32_u24 v34, v40, s6, 0
	v_add3_u32 v40, v33, v35, v104
	s_waitcnt lgkmcnt(0)
	s_barrier
	v_lshlrev_b32_sdwa v41, v32, v41 dst_sel:DWORD dst_unused:UNUSED_PAD src0_sel:DWORD src1_sel:BYTE_0
	v_add3_u32 v41, v34, v41, v104
	v_lshlrev_b32_sdwa v34, v32, v43 dst_sel:DWORD dst_unused:UNUSED_PAD src0_sel:DWORD src1_sel:BYTE_0
	s_waitcnt vmcnt(6)
	v_mul_f32_e32 v33, v5, v23
	v_fma_f32 v33, v55, v22, -v33
	v_sub_f32_e32 v33, v108, v33
	s_waitcnt vmcnt(5)
	v_mul_f32_e32 v35, v12, v21
	s_waitcnt vmcnt(4)
	v_mul_f32_e32 v48, v13, v19
	;; [unrolled: 2-line block ×3, first 2 shown]
	v_fma_f32 v60, v108, 2.0, -v33
	v_fma_f32 v35, v52, v20, -v35
	v_fma_f32 v48, v53, v18, -v48
	;; [unrolled: 1-line block ×3, first 2 shown]
	ds_write2_b32 v39, v60, v33 offset1:17
	v_sub_f32_e32 v33, v56, v35
	v_sub_f32_e32 v35, v57, v48
	;; [unrolled: 1-line block ×3, first 2 shown]
	s_waitcnt vmcnt(2)
	v_mul_f32_e32 v50, v11, v29
	s_waitcnt vmcnt(1)
	v_mul_f32_e32 v51, v31, v25
	v_fma_f32 v50, v27, v28, -v50
	v_fma_f32 v51, v107, v24, -v51
	v_sub_f32_e32 v49, v59, v50
	v_sub_f32_e32 v50, v54, v51
	v_fma_f32 v51, v56, 2.0, -v33
	ds_write2_b32 v40, v51, v33 offset1:17
	v_mad_u32_u24 v33, v42, s6, 0
	v_add3_u32 v42, v33, v34, v104
	v_mad_u32_u24 v33, v44, s6, 0
	v_lshlrev_b32_sdwa v34, v32, v45 dst_sel:DWORD dst_unused:UNUSED_PAD src0_sel:DWORD src1_sel:BYTE_0
	v_add3_u32 v43, v33, v34, v104
	v_mad_u32_u24 v33, v46, s6, 0
	v_lshlrev_b32_sdwa v34, v32, v47 dst_sel:DWORD dst_unused:UNUSED_PAD src0_sel:DWORD src1_sel:BYTE_0
	v_fma_f32 v56, v57, 2.0, -v35
	v_fma_f32 v57, v58, 2.0, -v48
	;; [unrolled: 1-line block ×4, first 2 shown]
	v_add3_u32 v44, v33, v34, v104
	ds_write2_b32 v41, v56, v35 offset1:17
	ds_write2_b32 v42, v57, v48 offset1:17
	;; [unrolled: 1-line block ×4, first 2 shown]
	s_and_saveexec_b64 s[2:3], s[0:1]
	s_cbranch_execz .LBB0_22
; %bb.21:
	s_waitcnt vmcnt(0)
	v_mul_f32_e32 v33, v37, v15
	v_lshlrev_b32_sdwa v32, v32, v38 dst_sel:DWORD dst_unused:UNUSED_PAD src0_sel:DWORD src1_sel:BYTE_0
	v_fma_f32 v33, v1, v14, -v33
	v_add3_u32 v32, 0, v32, v104
	v_sub_f32_e32 v33, v0, v33
	v_fma_f32 v0, v0, 2.0, -v33
	v_add_u32_e32 v32, 0x400, v32
	ds_write2_b32 v32, v0, v33 offset0:152 offset1:169
.LBB0_22:
	s_or_b64 exec, exec, s[2:3]
	v_mul_f32_e32 v0, v55, v23
	v_fmac_f32_e32 v0, v5, v22
	v_mul_f32_e32 v5, v52, v21
	v_fmac_f32_e32 v5, v12, v20
	;; [unrolled: 2-line block ×5, first 2 shown]
	v_mul_f32_e32 v11, v107, v25
	v_sub_f32_e32 v16, v30, v0
	v_fmac_f32_e32 v11, v31, v24
	v_fma_f32 v17, v30, 2.0, -v16
	s_waitcnt lgkmcnt(0)
	s_barrier
	ds_read_b32 v0, v106
	ds_read2_b32 v[32:33], v105 offset0:34 offset1:68
	ds_read2_b32 v[30:31], v105 offset0:102 offset1:136
	;; [unrolled: 1-line block ×3, first 2 shown]
	v_add_u32_e32 v18, 0x200, v105
	ds_read2_b32 v[24:25], v18 offset0:110 offset1:144
	v_add_u32_e32 v18, 0x400, v105
	ds_read2_b32 v[28:29], v18 offset0:50 offset1:84
	ds_read2_b32 v[34:35], v18 offset0:118 offset1:152
	v_sub_f32_e32 v5, v8, v5
	v_sub_f32_e32 v12, v9, v12
	;; [unrolled: 1-line block ×5, first 2 shown]
	v_fma_f32 v8, v8, 2.0, -v5
	v_fma_f32 v9, v9, 2.0, -v12
	;; [unrolled: 1-line block ×5, first 2 shown]
	s_waitcnt lgkmcnt(0)
	s_barrier
	ds_write2_b32 v39, v17, v16 offset1:17
	ds_write2_b32 v40, v8, v5 offset1:17
	;; [unrolled: 1-line block ×6, first 2 shown]
	s_and_saveexec_b64 s[2:3], s[0:1]
	s_cbranch_execz .LBB0_24
; %bb.23:
	s_waitcnt vmcnt(0)
	v_mul_f32_e32 v1, v1, v15
	v_mov_b32_e32 v5, 2
	v_fmac_f32_e32 v1, v37, v14
	v_lshlrev_b32_sdwa v5, v5, v38 dst_sel:DWORD dst_unused:UNUSED_PAD src0_sel:DWORD src1_sel:BYTE_0
	v_sub_f32_e32 v1, v36, v1
	v_add3_u32 v5, 0, v5, v104
	v_fma_f32 v4, v36, 2.0, -v1
	v_add_u32_e32 v5, 0x400, v5
	ds_write2_b32 v5, v4, v1 offset0:152 offset1:169
.LBB0_24:
	s_or_b64 exec, exec, s[2:3]
	s_waitcnt lgkmcnt(0)
	s_barrier
	s_and_saveexec_b64 s[0:1], vcc
	s_cbranch_execz .LBB0_26
; %bb.25:
	v_mul_u32_u24_e32 v1, 12, v102
	v_add_u32_e32 v4, 0x400, v105
	v_lshlrev_b32_e32 v1, 3, v1
	ds_read2_b32 v[48:49], v4 offset0:118 offset1:152
	global_load_dwordx4 v[36:39], v1, s[4:5] offset:216
	global_load_dwordx4 v[40:43], v1, s[4:5] offset:200
	ds_read2_b32 v[66:67], v105 offset0:34 offset1:68
	global_load_dwordx4 v[44:47], v1, s[4:5] offset:184
	global_load_dwordx4 v[54:57], v1, s[4:5] offset:168
	;; [unrolled: 1-line block ×4, first 2 shown]
	ds_read_b32 v1, v106
	ds_read2_b32 v[68:69], v4 offset0:50 offset1:84
	ds_read2_b32 v[70:71], v105 offset0:102 offset1:136
	v_add_u32_e32 v4, 0x200, v105
	ds_read2_b32 v[72:73], v4 offset0:110 offset1:144
	ds_read2_b32 v[74:75], v105 offset0:170 offset1:204
	v_mad_u64_u32 v[4:5], s[0:1], s8, v103, 0
	v_mov_b32_e32 v6, v5
	v_mad_u64_u32 v[6:7], s[0:1], s9, v103, v[6:7]
	v_mov_b32_e32 v5, v6
	s_waitcnt vmcnt(6)
	v_lshl_add_u64 v[14:15], v[2:3], 3, s[10:11]
	v_lshl_add_u64 v[52:53], v[4:5], 3, v[14:15]
	v_add_u32_e32 v5, 34, v103
	v_mad_u64_u32 v[2:3], s[0:1], s8, v5, 0
	v_mov_b32_e32 v4, v3
	v_mad_u64_u32 v[4:5], s[0:1], s9, v5, v[4:5]
	v_mov_b32_e32 v3, v4
	v_add_u32_e32 v5, 0x44, v103
	v_lshl_add_u64 v[50:51], v[2:3], 3, v[14:15]
	v_mad_u64_u32 v[2:3], s[0:1], s8, v5, 0
	v_mov_b32_e32 v4, v3
	v_mad_u64_u32 v[4:5], s[0:1], s9, v5, v[4:5]
	v_mov_b32_e32 v3, v4
	v_add_u32_e32 v5, 0x66, v103
	v_lshl_add_u64 v[22:23], v[2:3], 3, v[14:15]
	;; [unrolled: 6-line block ×5, first 2 shown]
	v_mad_u64_u32 v[2:3], s[0:1], s8, v5, 0
	v_mov_b32_e32 v4, v3
	v_mad_u64_u32 v[4:5], s[0:1], s9, v5, v[4:5]
	v_add_u32_e32 v7, 0xee, v103
	v_mov_b32_e32 v3, v4
	v_mad_u64_u32 v[4:5], s[0:1], s8, v7, 0
	v_mov_b32_e32 v6, v5
	v_mad_u64_u32 v[6:7], s[0:1], s9, v7, v[6:7]
	v_add_u32_e32 v9, 0x110, v103
	v_mov_b32_e32 v5, v6
	;; [unrolled: 5-line block ×6, first 2 shown]
	v_mad_u64_u32 v[76:77], s[0:1], s8, v79, 0
	v_mov_b32_e32 v78, v77
	v_mad_u64_u32 v[78:79], s[0:1], s9, v79, v[78:79]
	v_mov_b32_e32 v77, v78
	v_lshl_add_u64 v[2:3], v[2:3], 3, v[14:15]
	v_lshl_add_u64 v[4:5], v[4:5], 3, v[14:15]
	;; [unrolled: 1-line block ×7, first 2 shown]
	s_waitcnt vmcnt(0) lgkmcnt(5)
	v_pk_mul_f32 v[76:77], v[66:67], v[62:63] op_sel:[0,1] op_sel_hi:[0,0]
	v_pk_fma_f32 v[78:79], v[32:33], v[62:63], v[76:77] neg_lo:[0,0,1] neg_hi:[0,0,1]
	v_pk_fma_f32 v[62:63], v[32:33], v[62:63], v[76:77] op_sel_hi:[0,1,1]
	v_mov_b32_e32 v79, v63
	v_mov_b32_e32 v62, v39
	;; [unrolled: 1-line block ×6, first 2 shown]
	v_pk_mul_f32 v[62:63], v[76:77], v[62:63] op_sel_hi:[0,1]
	v_pk_fma_f32 v[76:77], v[32:33], v[38:39], v[62:63] neg_lo:[0,0,1] neg_hi:[0,0,1]
	v_pk_fma_f32 v[38:39], v[66:67], v[38:39], v[62:63] op_sel_hi:[0,1,1]
	v_mov_b32_e32 v62, v67
	v_mov_b32_e32 v66, v65
	;; [unrolled: 1-line block ×5, first 2 shown]
	v_pk_mul_f32 v[62:63], v[62:63], v[66:67] op_sel_hi:[0,1]
	v_pk_fma_f32 v[66:67], v[32:33], v[64:65], v[62:63] neg_lo:[0,0,1] neg_hi:[0,0,1]
	v_pk_fma_f32 v[32:33], v[38:39], v[64:65], v[62:63] op_sel_hi:[0,1,1]
	v_mov_b32_e32 v67, v33
	v_pk_mul_f32 v[32:33], v[48:49], v[36:37] op_sel:[0,1] op_sel_hi:[0,0]
	v_pk_fma_f32 v[62:63], v[34:35], v[36:37], v[32:33] neg_lo:[0,0,1] neg_hi:[0,0,1]
	v_pk_fma_f32 v[32:33], v[34:35], v[36:37], v[32:33] op_sel_hi:[0,1,1]
	v_mov_b32_e32 v63, v33
	s_waitcnt lgkmcnt(2)
	v_pk_mul_f32 v[32:33], v[70:71], v[58:59] op_sel:[0,1] op_sel_hi:[0,0]
	v_pk_fma_f32 v[64:65], v[30:31], v[58:59], v[32:33] neg_lo:[0,0,1] neg_hi:[0,0,1]
	v_pk_fma_f32 v[32:33], v[30:31], v[58:59], v[32:33] op_sel_hi:[0,1,1]
	v_mov_b32_e32 v34, v69
	v_mov_b32_e32 v36, v43
	;; [unrolled: 1-line block ×5, first 2 shown]
	v_pk_mul_f32 v[34:35], v[34:35], v[36:37] op_sel_hi:[0,1]
	v_mov_b32_e32 v65, v33
	v_pk_fma_f32 v[58:59], v[30:31], v[42:43], v[34:35] neg_lo:[0,0,1] neg_hi:[0,0,1]
	v_pk_fma_f32 v[32:33], v[32:33], v[42:43], v[34:35] op_sel_hi:[0,1,1]
	v_mov_b32_e32 v34, v71
	v_mov_b32_e32 v36, v61
	;; [unrolled: 1-line block ×5, first 2 shown]
	v_pk_mul_f32 v[34:35], v[34:35], v[36:37] op_sel_hi:[0,1]
	v_pk_fma_f32 v[70:71], v[30:31], v[60:61], v[34:35] neg_lo:[0,0,1] neg_hi:[0,0,1]
	v_pk_fma_f32 v[30:31], v[32:33], v[60:61], v[34:35] op_sel_hi:[0,1,1]
	v_mov_b32_e32 v71, v31
	v_pk_mul_f32 v[30:31], v[68:69], v[40:41] op_sel:[0,1] op_sel_hi:[0,0]
	v_pk_fma_f32 v[60:61], v[28:29], v[40:41], v[30:31] neg_lo:[0,0,1] neg_hi:[0,0,1]
	v_pk_fma_f32 v[28:29], v[28:29], v[40:41], v[30:31] op_sel_hi:[0,1,1]
	v_mov_b32_e32 v61, v29
	s_waitcnt lgkmcnt(0)
	v_pk_mul_f32 v[28:29], v[74:75], v[54:55] op_sel:[0,1] op_sel_hi:[0,0]
	v_mov_b32_e32 v59, v33
	v_pk_fma_f32 v[68:69], v[26:27], v[54:55], v[28:29] neg_lo:[0,0,1] neg_hi:[0,0,1]
	v_pk_fma_f32 v[28:29], v[26:27], v[54:55], v[28:29] op_sel_hi:[0,1,1]
	v_mov_b32_e32 v30, v73
	v_mov_b32_e32 v32, v47
	;; [unrolled: 1-line block ×5, first 2 shown]
	v_pk_mul_f32 v[30:31], v[30:31], v[32:33] op_sel_hi:[0,1]
	v_mov_b32_e32 v69, v29
	v_pk_fma_f32 v[54:55], v[26:27], v[46:47], v[30:31] neg_lo:[0,0,1] neg_hi:[0,0,1]
	v_pk_fma_f32 v[28:29], v[28:29], v[46:47], v[30:31] op_sel_hi:[0,1,1]
	v_mov_b32_e32 v30, v75
	v_mov_b32_e32 v32, v57
	v_mov_b32_e32 v33, v56
	v_mov_b32_e32 v26, v27
	v_mov_b32_e32 v28, v27
	v_pk_mul_f32 v[30:31], v[30:31], v[32:33] op_sel_hi:[0,1]
	v_pk_fma_f32 v[74:75], v[26:27], v[56:57], v[30:31] neg_lo:[0,0,1] neg_hi:[0,0,1]
	v_pk_fma_f32 v[26:27], v[28:29], v[56:57], v[30:31] op_sel_hi:[0,1,1]
	v_mov_b32_e32 v77, v39
	v_mov_b32_e32 v75, v27
	v_pk_mul_f32 v[26:27], v[72:73], v[44:45] op_sel:[0,1] op_sel_hi:[0,0]
	v_pk_fma_f32 v[56:57], v[24:25], v[44:45], v[26:27] neg_lo:[0,0,1] neg_hi:[0,0,1]
	v_pk_fma_f32 v[24:25], v[24:25], v[44:45], v[26:27] op_sel_hi:[0,1,1]
	v_pk_add_f32 v[26:27], v[78:79], v[76:77] neg_lo:[0,1] neg_hi:[0,1]
	s_mov_b32 s2, 0xbeedf032
	v_mov_b32_e32 v55, v29
	v_mov_b32_e32 v57, v25
	v_pk_add_f32 v[24:25], v[76:77], v[78:79]
	s_mov_b32 s0, 0x3f62ad3f
	v_pk_mul_f32 v[28:29], v[26:27], s[2:3] op_sel:[1,0] op_sel_hi:[0,0]
	v_pk_fma_f32 v[72:73], v[24:25], s[0:1], v[28:29] op_sel_hi:[1,0,1]
	v_pk_fma_f32 v[80:81], v[24:25], s[0:1], v[28:29] op_sel_hi:[1,0,1] neg_lo:[0,0,1] neg_hi:[0,0,1]
	v_mov_b32_e32 v28, v72
	v_mov_b32_e32 v29, v81
	v_pk_add_f32 v[30:31], v[66:67], v[62:63] neg_lo:[0,1] neg_hi:[0,1]
	s_mov_b32 s14, 0xbf52af12
	v_pk_add_f32 v[32:33], v[0:1], v[28:29]
	v_pk_add_f32 v[28:29], v[62:63], v[66:67]
	s_mov_b32 s2, 0x3f116cb1
	v_pk_mul_f32 v[34:35], v[30:31], s[14:15] op_sel:[1,0] op_sel_hi:[0,0]
	v_pk_fma_f32 v[82:83], v[28:29], s[2:3], v[34:35] op_sel_hi:[1,0,1]
	v_pk_fma_f32 v[84:85], v[28:29], s[2:3], v[34:35] op_sel_hi:[1,0,1] neg_lo:[0,0,1] neg_hi:[0,0,1]
	v_mov_b32_e32 v34, v82
	v_mov_b32_e32 v35, v85
	v_pk_add_f32 v[36:37], v[64:65], v[58:59] neg_lo:[0,1] neg_hi:[0,1]
	s_mov_b32 s24, 0xbf7e222b
	v_pk_add_f32 v[34:35], v[32:33], v[34:35]
	v_pk_add_f32 v[32:33], v[58:59], v[64:65]
	s_mov_b32 s4, 0x3df6dbef
	v_pk_mul_f32 v[38:39], v[36:37], s[24:25] op_sel:[1,0] op_sel_hi:[0,0]
	v_pk_fma_f32 v[86:87], v[32:33], s[4:5], v[38:39] op_sel_hi:[1,0,1]
	v_pk_fma_f32 v[88:89], v[32:33], s[4:5], v[38:39] op_sel_hi:[1,0,1] neg_lo:[0,0,1] neg_hi:[0,0,1]
	v_mov_b32_e32 v38, v86
	v_mov_b32_e32 v39, v89
	v_pk_add_f32 v[40:41], v[70:71], v[60:61] neg_lo:[0,1] neg_hi:[0,1]
	s_mov_b32 s8, 0xbf6f5d39
	v_pk_add_f32 v[34:35], v[34:35], v[38:39]
	v_pk_add_f32 v[38:39], v[60:61], v[70:71]
	s_mov_b32 s6, 0xbeb58ec6
	v_pk_mul_f32 v[42:43], v[40:41], s[8:9] op_sel:[1,0] op_sel_hi:[0,0]
	v_pk_add_f32 v[78:79], v[0:1], v[78:79]
	v_pk_fma_f32 v[90:91], v[38:39], s[6:7], v[42:43] op_sel_hi:[1,0,1]
	v_pk_fma_f32 v[92:93], v[38:39], s[6:7], v[42:43] op_sel_hi:[1,0,1] neg_lo:[0,0,1] neg_hi:[0,0,1]
	v_pk_add_f32 v[66:67], v[78:79], v[66:67]
	v_mov_b32_e32 v42, v90
	v_mov_b32_e32 v43, v93
	v_pk_add_f32 v[44:45], v[68:69], v[54:55] neg_lo:[0,1] neg_hi:[0,1]
	s_mov_b32 s12, 0xbf29c268
	v_pk_add_f32 v[64:65], v[66:67], v[64:65]
	v_pk_add_f32 v[34:35], v[34:35], v[42:43]
	v_pk_add_f32 v[42:43], v[54:55], v[68:69]
	s_mov_b32 s10, 0xbf3f9e67
	v_pk_mul_f32 v[46:47], v[44:45], s[12:13] op_sel:[1,0] op_sel_hi:[0,0]
	v_pk_add_f32 v[64:65], v[64:65], v[70:71]
	v_pk_fma_f32 v[94:95], v[42:43], s[10:11], v[46:47] op_sel_hi:[1,0,1]
	v_pk_fma_f32 v[96:97], v[42:43], s[10:11], v[46:47] op_sel_hi:[1,0,1] neg_lo:[0,0,1] neg_hi:[0,0,1]
	v_pk_add_f32 v[64:65], v[64:65], v[68:69]
	v_mov_b32_e32 v46, v94
	v_mov_b32_e32 v47, v97
	v_pk_add_f32 v[64:65], v[64:65], v[74:75]
	v_pk_add_f32 v[34:35], v[34:35], v[46:47]
	;; [unrolled: 1-line block ×3, first 2 shown]
	v_pk_add_f32 v[48:49], v[74:75], v[56:57] neg_lo:[0,1] neg_hi:[0,1]
	v_pk_add_f32 v[56:57], v[56:57], v[64:65]
	v_mov_b32_e32 v81, v73
	v_pk_add_f32 v[54:55], v[54:55], v[56:57]
	v_mov_b32_e32 v85, v83
	v_pk_add_f32 v[54:55], v[60:61], v[54:55]
	s_mov_b32 s18, 0xbe750f2a
	v_pk_add_f32 v[54:55], v[58:59], v[54:55]
	v_mov_b32_e32 v89, v87
	v_pk_add_f32 v[54:55], v[62:63], v[54:55]
	s_mov_b32 s16, 0xbf788fa5
	v_pk_add_f32 v[54:55], v[76:77], v[54:55]
	global_store_dwordx2 v[52:53], v[54:55], off
	v_pk_add_f32 v[52:53], v[0:1], v[80:81]
	v_pk_mul_f32 v[98:99], v[48:49], s[18:19] op_sel:[1,0] op_sel_hi:[0,0]
	v_pk_add_f32 v[52:53], v[52:53], v[84:85]
	v_mov_b32_e32 v93, v91
	v_pk_add_f32 v[52:53], v[52:53], v[88:89]
	v_pk_fma_f32 v[100:101], v[46:47], s[16:17], v[98:99] op_sel_hi:[1,0,1]
	v_pk_fma_f32 v[98:99], v[46:47], s[16:17], v[98:99] op_sel_hi:[1,0,1] neg_lo:[0,0,1] neg_hi:[0,0,1]
	v_pk_add_f32 v[52:53], v[52:53], v[92:93]
	v_mov_b32_e32 v97, v95
	v_mov_b32_e32 v103, v99
	v_pk_add_f32 v[52:53], v[52:53], v[96:97]
	v_mov_b32_e32 v99, v101
	v_pk_add_f32 v[52:53], v[52:53], v[98:99]
	global_store_dwordx2 v[50:51], v[52:53], off
	v_pk_mul_f32 v[50:51], v[26:27], s[14:15] op_sel:[1,0] op_sel_hi:[0,0]
	v_pk_mul_f32 v[52:53], v[30:31], s[8:9] op_sel:[1,0] op_sel_hi:[0,0]
	v_pk_fma_f32 v[62:63], v[24:25], s[2:3], v[50:51] op_sel_hi:[1,0,1]
	v_pk_fma_f32 v[50:51], v[24:25], s[2:3], v[50:51] op_sel_hi:[1,0,1] neg_lo:[0,0,1] neg_hi:[0,0,1]
	v_mov_b32_e32 v64, v62
	v_mov_b32_e32 v65, v51
	v_pk_fma_f32 v[66:67], v[28:29], s[6:7], v[52:53] op_sel_hi:[1,0,1]
	v_pk_fma_f32 v[52:53], v[28:29], s[6:7], v[52:53] op_sel_hi:[1,0,1] neg_lo:[0,0,1] neg_hi:[0,0,1]
	v_pk_mul_f32 v[54:55], v[36:37], s[18:19] op_sel:[1,0] op_sel_hi:[0,0]
	v_pk_add_f32 v[64:65], v[0:1], v[64:65]
	v_mov_b32_e32 v68, v66
	v_mov_b32_e32 v69, v53
	s_mov_b32 s26, 0x3f29c268
	v_pk_add_f32 v[64:65], v[64:65], v[68:69]
	v_pk_fma_f32 v[68:69], v[32:33], s[16:17], v[54:55] op_sel_hi:[1,0,1]
	v_pk_fma_f32 v[54:55], v[32:33], s[16:17], v[54:55] op_sel_hi:[1,0,1] neg_lo:[0,0,1] neg_hi:[0,0,1]
	v_pk_mul_f32 v[56:57], v[40:41], s[26:27] op_sel:[1,0] op_sel_hi:[0,0]
	v_mov_b32_e32 v70, v68
	v_mov_b32_e32 v71, v55
	s_mov_b32 s20, 0x3f7e222b
	v_pk_add_f32 v[64:65], v[64:65], v[70:71]
	v_pk_fma_f32 v[70:71], v[38:39], s[10:11], v[56:57] op_sel_hi:[1,0,1]
	v_pk_fma_f32 v[56:57], v[38:39], s[10:11], v[56:57] op_sel_hi:[1,0,1] neg_lo:[0,0,1] neg_hi:[0,0,1]
	v_mov_b32_e32 v51, v63
	v_pk_mul_f32 v[58:59], v[44:45], s[20:21] op_sel:[1,0] op_sel_hi:[0,0]
	v_mov_b32_e32 v72, v70
	v_mov_b32_e32 v73, v57
	v_pk_add_f32 v[50:51], v[0:1], v[50:51]
	v_mov_b32_e32 v53, v67
	s_mov_b32 s22, 0x3eedf032
	v_pk_add_f32 v[64:65], v[64:65], v[72:73]
	v_pk_fma_f32 v[72:73], v[42:43], s[4:5], v[58:59] op_sel_hi:[1,0,1]
	v_pk_fma_f32 v[58:59], v[42:43], s[4:5], v[58:59] op_sel_hi:[1,0,1] neg_lo:[0,0,1] neg_hi:[0,0,1]
	v_pk_add_f32 v[50:51], v[50:51], v[52:53]
	v_mov_b32_e32 v55, v69
	v_pk_mul_f32 v[60:61], v[48:49], s[22:23] op_sel:[1,0] op_sel_hi:[0,0]
	v_mov_b32_e32 v74, v72
	v_mov_b32_e32 v75, v59
	v_pk_add_f32 v[50:51], v[50:51], v[54:55]
	v_mov_b32_e32 v57, v71
	v_pk_add_f32 v[64:65], v[64:65], v[74:75]
	v_pk_fma_f32 v[74:75], v[46:47], s[0:1], v[60:61] op_sel_hi:[1,0,1]
	v_pk_fma_f32 v[60:61], v[46:47], s[0:1], v[60:61] op_sel_hi:[1,0,1] neg_lo:[0,0,1] neg_hi:[0,0,1]
	v_pk_add_f32 v[50:51], v[50:51], v[56:57]
	v_mov_b32_e32 v59, v73
	v_mov_b32_e32 v77, v61
	v_pk_add_f32 v[50:51], v[50:51], v[58:59]
	v_mov_b32_e32 v61, v75
	v_pk_add_f32 v[50:51], v[50:51], v[60:61]
	global_store_dwordx2 v[22:23], v[50:51], off
	v_pk_mul_f32 v[22:23], v[26:27], s[24:25] op_sel:[1,0] op_sel_hi:[0,0]
	v_pk_fma_f32 v[50:51], v[24:25], s[4:5], v[22:23] op_sel_hi:[1,0,1]
	v_pk_fma_f32 v[22:23], v[24:25], s[4:5], v[22:23] op_sel_hi:[1,0,1] neg_lo:[0,0,1] neg_hi:[0,0,1]
	v_pk_mul_f32 v[54:55], v[30:31], s[18:19] op_sel:[1,0] op_sel_hi:[0,0]
	v_mov_b32_e32 v52, v50
	v_mov_b32_e32 v53, v23
	v_pk_fma_f32 v[56:57], v[28:29], s[16:17], v[54:55] op_sel_hi:[1,0,1]
	v_pk_fma_f32 v[54:55], v[28:29], s[16:17], v[54:55] op_sel_hi:[1,0,1] neg_lo:[0,0,1] neg_hi:[0,0,1]
	v_pk_add_f32 v[52:53], v[0:1], v[52:53]
	v_mov_b32_e32 v58, v56
	v_mov_b32_e32 v59, v55
	s_mov_b32 s28, 0x3f6f5d39
	v_pk_add_f32 v[52:53], v[52:53], v[58:59]
	v_pk_mul_f32 v[58:59], v[36:37], s[28:29] op_sel:[1,0] op_sel_hi:[0,0]
	v_pk_fma_f32 v[60:61], v[32:33], s[6:7], v[58:59] op_sel_hi:[1,0,1]
	v_pk_fma_f32 v[58:59], v[32:33], s[6:7], v[58:59] op_sel_hi:[1,0,1] neg_lo:[0,0,1] neg_hi:[0,0,1]
	v_mov_b32_e32 v62, v60
	v_mov_b32_e32 v63, v59
	v_pk_add_f32 v[52:53], v[52:53], v[62:63]
	v_pk_mul_f32 v[62:63], v[40:41], s[22:23] op_sel:[1,0] op_sel_hi:[0,0]
	v_pk_fma_f32 v[66:67], v[38:39], s[0:1], v[62:63] op_sel_hi:[1,0,1]
	v_pk_fma_f32 v[62:63], v[38:39], s[0:1], v[62:63] op_sel_hi:[1,0,1] neg_lo:[0,0,1] neg_hi:[0,0,1]
	v_mov_b32_e32 v68, v66
	v_mov_b32_e32 v69, v63
	v_pk_add_f32 v[52:53], v[52:53], v[68:69]
	v_pk_mul_f32 v[68:69], v[44:45], s[14:15] op_sel:[1,0] op_sel_hi:[0,0]
	v_mov_b32_e32 v23, v51
	v_pk_fma_f32 v[70:71], v[42:43], s[2:3], v[68:69] op_sel_hi:[1,0,1]
	v_pk_fma_f32 v[68:69], v[42:43], s[2:3], v[68:69] op_sel_hi:[1,0,1] neg_lo:[0,0,1] neg_hi:[0,0,1]
	v_pk_add_f32 v[22:23], v[0:1], v[22:23]
	v_mov_b32_e32 v55, v57
	v_mov_b32_e32 v72, v70
	;; [unrolled: 1-line block ×3, first 2 shown]
	v_pk_add_f32 v[22:23], v[22:23], v[54:55]
	v_mov_b32_e32 v59, v61
	v_pk_add_f32 v[52:53], v[52:53], v[72:73]
	v_pk_mul_f32 v[72:73], v[48:49], s[12:13] op_sel:[1,0] op_sel_hi:[0,0]
	v_pk_add_f32 v[22:23], v[22:23], v[58:59]
	v_mov_b32_e32 v63, v67
	v_mov_b32_e32 v76, v74
	v_pk_fma_f32 v[74:75], v[46:47], s[10:11], v[72:73] op_sel_hi:[1,0,1]
	v_pk_fma_f32 v[72:73], v[46:47], s[10:11], v[72:73] op_sel_hi:[1,0,1] neg_lo:[0,0,1] neg_hi:[0,0,1]
	v_pk_add_f32 v[22:23], v[22:23], v[62:63]
	v_mov_b32_e32 v69, v71
	v_pk_add_f32 v[64:65], v[64:65], v[76:77]
	v_mov_b32_e32 v77, v73
	;; [unrolled: 2-line block ×3, first 2 shown]
	v_pk_add_f32 v[22:23], v[22:23], v[72:73]
	global_store_dwordx2 v[20:21], v[22:23], off
	v_pk_mul_f32 v[20:21], v[26:27], s[8:9] op_sel:[1,0] op_sel_hi:[0,0]
	v_pk_mul_f32 v[22:23], v[30:31], s[26:27] op_sel:[1,0] op_sel_hi:[0,0]
	v_pk_fma_f32 v[60:61], v[24:25], s[6:7], v[20:21] op_sel_hi:[1,0,1]
	v_pk_fma_f32 v[20:21], v[24:25], s[6:7], v[20:21] op_sel_hi:[1,0,1] neg_lo:[0,0,1] neg_hi:[0,0,1]
	v_mov_b32_e32 v62, v60
	v_mov_b32_e32 v63, v21
	v_pk_fma_f32 v[66:67], v[28:29], s[10:11], v[22:23] op_sel_hi:[1,0,1]
	v_pk_fma_f32 v[22:23], v[28:29], s[10:11], v[22:23] op_sel_hi:[1,0,1] neg_lo:[0,0,1] neg_hi:[0,0,1]
	v_pk_mul_f32 v[50:51], v[36:37], s[22:23] op_sel:[1,0] op_sel_hi:[0,0]
	v_pk_add_f32 v[62:63], v[0:1], v[62:63]
	v_mov_b32_e32 v68, v66
	v_mov_b32_e32 v69, v23
	v_pk_add_f32 v[62:63], v[62:63], v[68:69]
	v_pk_fma_f32 v[68:69], v[32:33], s[0:1], v[50:51] op_sel_hi:[1,0,1]
	v_pk_fma_f32 v[50:51], v[32:33], s[0:1], v[50:51] op_sel_hi:[1,0,1] neg_lo:[0,0,1] neg_hi:[0,0,1]
	v_pk_mul_f32 v[54:55], v[40:41], s[24:25] op_sel:[1,0] op_sel_hi:[0,0]
	v_mov_b32_e32 v70, v68
	v_mov_b32_e32 v71, v51
	s_mov_b32 s26, 0x3e750f2a
	v_pk_add_f32 v[62:63], v[62:63], v[70:71]
	v_pk_fma_f32 v[70:71], v[38:39], s[4:5], v[54:55] op_sel_hi:[1,0,1]
	v_pk_fma_f32 v[54:55], v[38:39], s[4:5], v[54:55] op_sel_hi:[1,0,1] neg_lo:[0,0,1] neg_hi:[0,0,1]
	v_mov_b32_e32 v21, v61
	v_pk_mul_f32 v[56:57], v[44:45], s[26:27] op_sel:[1,0] op_sel_hi:[0,0]
	v_mov_b32_e32 v72, v70
	v_mov_b32_e32 v73, v55
	v_pk_add_f32 v[20:21], v[0:1], v[20:21]
	v_mov_b32_e32 v23, v67
	s_mov_b32 s24, 0x3f52af12
	v_pk_add_f32 v[62:63], v[62:63], v[72:73]
	v_pk_fma_f32 v[72:73], v[42:43], s[16:17], v[56:57] op_sel_hi:[1,0,1]
	v_pk_fma_f32 v[56:57], v[42:43], s[16:17], v[56:57] op_sel_hi:[1,0,1] neg_lo:[0,0,1] neg_hi:[0,0,1]
	v_pk_add_f32 v[20:21], v[20:21], v[22:23]
	v_mov_b32_e32 v51, v69
	v_mov_b32_e32 v76, v74
	v_pk_mul_f32 v[58:59], v[48:49], s[24:25] op_sel:[1,0] op_sel_hi:[0,0]
	v_mov_b32_e32 v74, v72
	v_mov_b32_e32 v75, v57
	v_pk_add_f32 v[20:21], v[20:21], v[50:51]
	v_mov_b32_e32 v55, v71
	v_pk_add_f32 v[62:63], v[62:63], v[74:75]
	v_pk_fma_f32 v[74:75], v[46:47], s[2:3], v[58:59] op_sel_hi:[1,0,1]
	v_pk_fma_f32 v[58:59], v[46:47], s[2:3], v[58:59] op_sel_hi:[1,0,1] neg_lo:[0,0,1] neg_hi:[0,0,1]
	v_pk_add_f32 v[20:21], v[20:21], v[54:55]
	v_mov_b32_e32 v57, v73
	v_pk_add_f32 v[52:53], v[52:53], v[76:77]
	v_mov_b32_e32 v77, v59
	;; [unrolled: 2-line block ×3, first 2 shown]
	v_pk_add_f32 v[20:21], v[20:21], v[58:59]
	global_store_dwordx2 v[18:19], v[20:21], off
	v_pk_mul_f32 v[18:19], v[26:27], s[12:13] op_sel:[1,0] op_sel_hi:[0,0]
	v_pk_fma_f32 v[20:21], v[24:25], s[10:11], v[18:19] op_sel_hi:[1,0,1]
	v_pk_fma_f32 v[18:19], v[24:25], s[10:11], v[18:19] op_sel_hi:[1,0,1] neg_lo:[0,0,1] neg_hi:[0,0,1]
	v_pk_mul_f32 v[50:51], v[30:31], s[20:21] op_sel:[1,0] op_sel_hi:[0,0]
	v_mov_b32_e32 v22, v20
	v_mov_b32_e32 v23, v19
	v_pk_fma_f32 v[54:55], v[28:29], s[4:5], v[50:51] op_sel_hi:[1,0,1]
	v_pk_fma_f32 v[50:51], v[28:29], s[4:5], v[50:51] op_sel_hi:[1,0,1] neg_lo:[0,0,1] neg_hi:[0,0,1]
	v_pk_add_f32 v[22:23], v[0:1], v[22:23]
	v_mov_b32_e32 v56, v54
	v_mov_b32_e32 v57, v51
	v_pk_add_f32 v[22:23], v[22:23], v[56:57]
	v_pk_mul_f32 v[56:57], v[36:37], s[14:15] op_sel:[1,0] op_sel_hi:[0,0]
	v_pk_fma_f32 v[58:59], v[32:33], s[2:3], v[56:57] op_sel_hi:[1,0,1]
	v_pk_fma_f32 v[56:57], v[32:33], s[2:3], v[56:57] op_sel_hi:[1,0,1] neg_lo:[0,0,1] neg_hi:[0,0,1]
	v_mov_b32_e32 v60, v58
	v_mov_b32_e32 v61, v57
	v_pk_add_f32 v[22:23], v[22:23], v[60:61]
	v_pk_mul_f32 v[60:61], v[40:41], s[26:27] op_sel:[1,0] op_sel_hi:[0,0]
	v_pk_fma_f32 v[66:67], v[38:39], s[16:17], v[60:61] op_sel_hi:[1,0,1]
	v_pk_fma_f32 v[60:61], v[38:39], s[16:17], v[60:61] op_sel_hi:[1,0,1] neg_lo:[0,0,1] neg_hi:[0,0,1]
	v_mov_b32_e32 v68, v66
	v_mov_b32_e32 v69, v61
	v_pk_add_f32 v[22:23], v[22:23], v[68:69]
	v_pk_mul_f32 v[68:69], v[44:45], s[22:23] op_sel:[1,0] op_sel_hi:[0,0]
	v_mov_b32_e32 v19, v21
	v_pk_fma_f32 v[70:71], v[42:43], s[0:1], v[68:69] op_sel_hi:[1,0,1]
	v_pk_fma_f32 v[68:69], v[42:43], s[0:1], v[68:69] op_sel_hi:[1,0,1] neg_lo:[0,0,1] neg_hi:[0,0,1]
	v_pk_add_f32 v[18:19], v[0:1], v[18:19]
	v_mov_b32_e32 v51, v55
	v_mov_b32_e32 v72, v70
	;; [unrolled: 1-line block ×3, first 2 shown]
	v_pk_add_f32 v[18:19], v[18:19], v[50:51]
	v_mov_b32_e32 v57, v59
	v_pk_add_f32 v[22:23], v[22:23], v[72:73]
	v_pk_mul_f32 v[72:73], v[48:49], s[8:9] op_sel:[1,0] op_sel_hi:[0,0]
	v_pk_add_f32 v[18:19], v[18:19], v[56:57]
	v_mov_b32_e32 v61, v67
	v_mov_b32_e32 v76, v74
	v_pk_fma_f32 v[74:75], v[46:47], s[6:7], v[72:73] op_sel_hi:[1,0,1]
	v_pk_fma_f32 v[72:73], v[46:47], s[6:7], v[72:73] op_sel_hi:[1,0,1] neg_lo:[0,0,1] neg_hi:[0,0,1]
	v_pk_add_f32 v[18:19], v[18:19], v[60:61]
	v_mov_b32_e32 v69, v71
	v_pk_add_f32 v[62:63], v[62:63], v[76:77]
	v_mov_b32_e32 v77, v73
	;; [unrolled: 2-line block ×3, first 2 shown]
	v_pk_add_f32 v[18:19], v[18:19], v[72:73]
	global_store_dwordx2 v[16:17], v[18:19], off
	v_pk_mul_f32 v[16:17], v[26:27], s[18:19] op_sel:[1,0] op_sel_hi:[0,0]
	v_pk_fma_f32 v[18:19], v[24:25], s[16:17], v[16:17] op_sel_hi:[1,0,1]
	v_pk_fma_f32 v[16:17], v[24:25], s[16:17], v[16:17] op_sel_hi:[1,0,1] neg_lo:[0,0,1] neg_hi:[0,0,1]
	v_pk_mul_f32 v[24:25], v[30:31], s[22:23] op_sel:[1,0] op_sel_hi:[0,0]
	v_mov_b32_e32 v20, v18
	v_mov_b32_e32 v21, v17
	v_pk_fma_f32 v[26:27], v[28:29], s[0:1], v[24:25] op_sel_hi:[1,0,1]
	v_pk_fma_f32 v[24:25], v[28:29], s[0:1], v[24:25] op_sel_hi:[1,0,1] neg_lo:[0,0,1] neg_hi:[0,0,1]
	v_pk_add_f32 v[20:21], v[0:1], v[20:21]
	v_mov_b32_e32 v28, v26
	v_mov_b32_e32 v29, v25
	v_pk_add_f32 v[20:21], v[20:21], v[28:29]
	v_pk_mul_f32 v[28:29], v[36:37], s[12:13] op_sel:[1,0] op_sel_hi:[0,0]
	v_pk_fma_f32 v[30:31], v[32:33], s[10:11], v[28:29] op_sel_hi:[1,0,1]
	v_pk_fma_f32 v[28:29], v[32:33], s[10:11], v[28:29] op_sel_hi:[1,0,1] neg_lo:[0,0,1] neg_hi:[0,0,1]
	v_mov_b32_e32 v32, v30
	v_mov_b32_e32 v33, v29
	v_pk_add_f32 v[20:21], v[20:21], v[32:33]
	v_pk_mul_f32 v[32:33], v[40:41], s[24:25] op_sel:[1,0] op_sel_hi:[0,0]
	v_pk_fma_f32 v[36:37], v[38:39], s[2:3], v[32:33] op_sel_hi:[1,0,1]
	v_pk_fma_f32 v[32:33], v[38:39], s[2:3], v[32:33] op_sel_hi:[1,0,1] neg_lo:[0,0,1] neg_hi:[0,0,1]
	v_mov_b32_e32 v38, v36
	v_mov_b32_e32 v39, v33
	v_pk_add_f32 v[20:21], v[20:21], v[38:39]
	v_pk_mul_f32 v[38:39], v[44:45], s[8:9] op_sel:[1,0] op_sel_hi:[0,0]
	v_mov_b32_e32 v17, v19
	v_pk_fma_f32 v[40:41], v[42:43], s[6:7], v[38:39] op_sel_hi:[1,0,1]
	v_pk_fma_f32 v[38:39], v[42:43], s[6:7], v[38:39] op_sel_hi:[1,0,1] neg_lo:[0,0,1] neg_hi:[0,0,1]
	v_pk_add_f32 v[0:1], v[0:1], v[16:17]
	v_mov_b32_e32 v25, v27
	v_mov_b32_e32 v42, v40
	;; [unrolled: 1-line block ×3, first 2 shown]
	v_pk_add_f32 v[0:1], v[0:1], v[24:25]
	v_mov_b32_e32 v29, v31
	v_pk_add_f32 v[20:21], v[20:21], v[42:43]
	v_pk_mul_f32 v[42:43], v[48:49], s[20:21] op_sel:[1,0] op_sel_hi:[0,0]
	v_pk_add_f32 v[0:1], v[0:1], v[28:29]
	v_mov_b32_e32 v33, v37
	v_pk_fma_f32 v[44:45], v[46:47], s[4:5], v[42:43] op_sel_hi:[1,0,1]
	v_pk_fma_f32 v[42:43], v[46:47], s[4:5], v[42:43] op_sel_hi:[1,0,1] neg_lo:[0,0,1] neg_hi:[0,0,1]
	v_pk_add_f32 v[0:1], v[0:1], v[32:33]
	v_mov_b32_e32 v39, v41
	v_mov_b32_e32 v47, v43
	v_pk_add_f32 v[0:1], v[0:1], v[38:39]
	v_mov_b32_e32 v43, v45
	v_mov_b32_e32 v102, v100
	;; [unrolled: 1-line block ×4, first 2 shown]
	v_pk_add_f32 v[0:1], v[0:1], v[42:43]
	v_pk_add_f32 v[34:35], v[34:35], v[102:103]
	;; [unrolled: 1-line block ×4, first 2 shown]
	global_store_dwordx2 v[2:3], v[0:1], off
	global_store_dwordx2 v[4:5], v[20:21], off
	;; [unrolled: 1-line block ×7, first 2 shown]
.LBB0_26:
	s_endpgm
	.section	.rodata,"a",@progbits
	.p2align	6, 0x0
	.amdhsa_kernel fft_rtc_fwd_len442_factors_17_2_13_wgs_238_tpt_34_halfLds_sp_ip_CI_sbrr_dirReg
		.amdhsa_group_segment_fixed_size 0
		.amdhsa_private_segment_fixed_size 0
		.amdhsa_kernarg_size 88
		.amdhsa_user_sgpr_count 2
		.amdhsa_user_sgpr_dispatch_ptr 0
		.amdhsa_user_sgpr_queue_ptr 0
		.amdhsa_user_sgpr_kernarg_segment_ptr 1
		.amdhsa_user_sgpr_dispatch_id 0
		.amdhsa_user_sgpr_kernarg_preload_length 0
		.amdhsa_user_sgpr_kernarg_preload_offset 0
		.amdhsa_user_sgpr_private_segment_size 0
		.amdhsa_uses_dynamic_stack 0
		.amdhsa_enable_private_segment 0
		.amdhsa_system_sgpr_workgroup_id_x 1
		.amdhsa_system_sgpr_workgroup_id_y 0
		.amdhsa_system_sgpr_workgroup_id_z 0
		.amdhsa_system_sgpr_workgroup_info 0
		.amdhsa_system_vgpr_workitem_id 0
		.amdhsa_next_free_vgpr 140
		.amdhsa_next_free_sgpr 62
		.amdhsa_accum_offset 140
		.amdhsa_reserve_vcc 1
		.amdhsa_float_round_mode_32 0
		.amdhsa_float_round_mode_16_64 0
		.amdhsa_float_denorm_mode_32 3
		.amdhsa_float_denorm_mode_16_64 3
		.amdhsa_dx10_clamp 1
		.amdhsa_ieee_mode 1
		.amdhsa_fp16_overflow 0
		.amdhsa_tg_split 0
		.amdhsa_exception_fp_ieee_invalid_op 0
		.amdhsa_exception_fp_denorm_src 0
		.amdhsa_exception_fp_ieee_div_zero 0
		.amdhsa_exception_fp_ieee_overflow 0
		.amdhsa_exception_fp_ieee_underflow 0
		.amdhsa_exception_fp_ieee_inexact 0
		.amdhsa_exception_int_div_zero 0
	.end_amdhsa_kernel
	.text
.Lfunc_end0:
	.size	fft_rtc_fwd_len442_factors_17_2_13_wgs_238_tpt_34_halfLds_sp_ip_CI_sbrr_dirReg, .Lfunc_end0-fft_rtc_fwd_len442_factors_17_2_13_wgs_238_tpt_34_halfLds_sp_ip_CI_sbrr_dirReg
                                        ; -- End function
	.section	.AMDGPU.csdata,"",@progbits
; Kernel info:
; codeLenInByte = 12204
; NumSgprs: 68
; NumVgprs: 140
; NumAgprs: 0
; TotalNumVgprs: 140
; ScratchSize: 0
; MemoryBound: 0
; FloatMode: 240
; IeeeMode: 1
; LDSByteSize: 0 bytes/workgroup (compile time only)
; SGPRBlocks: 8
; VGPRBlocks: 17
; NumSGPRsForWavesPerEU: 68
; NumVGPRsForWavesPerEU: 140
; AccumOffset: 140
; Occupancy: 3
; WaveLimiterHint : 1
; COMPUTE_PGM_RSRC2:SCRATCH_EN: 0
; COMPUTE_PGM_RSRC2:USER_SGPR: 2
; COMPUTE_PGM_RSRC2:TRAP_HANDLER: 0
; COMPUTE_PGM_RSRC2:TGID_X_EN: 1
; COMPUTE_PGM_RSRC2:TGID_Y_EN: 0
; COMPUTE_PGM_RSRC2:TGID_Z_EN: 0
; COMPUTE_PGM_RSRC2:TIDIG_COMP_CNT: 0
; COMPUTE_PGM_RSRC3_GFX90A:ACCUM_OFFSET: 34
; COMPUTE_PGM_RSRC3_GFX90A:TG_SPLIT: 0
	.text
	.p2alignl 6, 3212836864
	.fill 256, 4, 3212836864
	.type	__hip_cuid_5b5e642ebd63427f,@object ; @__hip_cuid_5b5e642ebd63427f
	.section	.bss,"aw",@nobits
	.globl	__hip_cuid_5b5e642ebd63427f
__hip_cuid_5b5e642ebd63427f:
	.byte	0                               ; 0x0
	.size	__hip_cuid_5b5e642ebd63427f, 1

	.ident	"AMD clang version 19.0.0git (https://github.com/RadeonOpenCompute/llvm-project roc-6.4.0 25133 c7fe45cf4b819c5991fe208aaa96edf142730f1d)"
	.section	".note.GNU-stack","",@progbits
	.addrsig
	.addrsig_sym __hip_cuid_5b5e642ebd63427f
	.amdgpu_metadata
---
amdhsa.kernels:
  - .agpr_count:     0
    .args:
      - .actual_access:  read_only
        .address_space:  global
        .offset:         0
        .size:           8
        .value_kind:     global_buffer
      - .offset:         8
        .size:           8
        .value_kind:     by_value
      - .actual_access:  read_only
        .address_space:  global
        .offset:         16
        .size:           8
        .value_kind:     global_buffer
      - .actual_access:  read_only
        .address_space:  global
        .offset:         24
        .size:           8
        .value_kind:     global_buffer
      - .offset:         32
        .size:           8
        .value_kind:     by_value
      - .actual_access:  read_only
        .address_space:  global
        .offset:         40
        .size:           8
        .value_kind:     global_buffer
      - .actual_access:  read_only
        .address_space:  global
        .offset:         48
        .size:           8
        .value_kind:     global_buffer
      - .offset:         56
        .size:           4
        .value_kind:     by_value
      - .actual_access:  read_only
        .address_space:  global
        .offset:         64
        .size:           8
        .value_kind:     global_buffer
      - .actual_access:  read_only
        .address_space:  global
        .offset:         72
        .size:           8
        .value_kind:     global_buffer
      - .address_space:  global
        .offset:         80
        .size:           8
        .value_kind:     global_buffer
    .group_segment_fixed_size: 0
    .kernarg_segment_align: 8
    .kernarg_segment_size: 88
    .language:       OpenCL C
    .language_version:
      - 2
      - 0
    .max_flat_workgroup_size: 238
    .name:           fft_rtc_fwd_len442_factors_17_2_13_wgs_238_tpt_34_halfLds_sp_ip_CI_sbrr_dirReg
    .private_segment_fixed_size: 0
    .sgpr_count:     68
    .sgpr_spill_count: 0
    .symbol:         fft_rtc_fwd_len442_factors_17_2_13_wgs_238_tpt_34_halfLds_sp_ip_CI_sbrr_dirReg.kd
    .uniform_work_group_size: 1
    .uses_dynamic_stack: false
    .vgpr_count:     140
    .vgpr_spill_count: 0
    .wavefront_size: 64
amdhsa.target:   amdgcn-amd-amdhsa--gfx950
amdhsa.version:
  - 1
  - 2
...

	.end_amdgpu_metadata
